;; amdgpu-corpus repo=ROCm/rocFFT kind=compiled arch=gfx1201 opt=O3
	.text
	.amdgcn_target "amdgcn-amd-amdhsa--gfx1201"
	.amdhsa_code_object_version 6
	.protected	bluestein_single_fwd_len1360_dim1_sp_op_CI_CI ; -- Begin function bluestein_single_fwd_len1360_dim1_sp_op_CI_CI
	.globl	bluestein_single_fwd_len1360_dim1_sp_op_CI_CI
	.p2align	8
	.type	bluestein_single_fwd_len1360_dim1_sp_op_CI_CI,@function
bluestein_single_fwd_len1360_dim1_sp_op_CI_CI: ; @bluestein_single_fwd_len1360_dim1_sp_op_CI_CI
; %bb.0:
	s_load_b128 s[4:7], s[0:1], 0x28
	v_mul_u32_u24_e32 v1, 0x304, v0
	s_mov_b32 s2, exec_lo
	s_delay_alu instid0(VALU_DEP_1) | instskip(NEXT) | instid1(VALU_DEP_1)
	v_lshrrev_b32_e32 v1, 16, v1
	v_mad_co_u64_u32 v[92:93], null, ttmp9, 3, v[1:2]
	v_mov_b32_e32 v93, 0
                                        ; kill: def $vgpr2 killed $sgpr0 killed $exec
	s_wait_kmcnt 0x0
	s_delay_alu instid0(VALU_DEP_1)
	v_cmpx_gt_u64_e64 s[4:5], v[92:93]
	s_cbranch_execz .LBB0_23
; %bb.1:
	v_mul_hi_u32 v2, 0xaaaaaaab, v92
	v_mul_lo_u16 v1, 0x55, v1
	s_clause 0x1
	s_load_b64 s[12:13], s[0:1], 0x0
	s_load_b64 s[14:15], s[0:1], 0x38
	s_delay_alu instid0(VALU_DEP_1) | instskip(NEXT) | instid1(VALU_DEP_3)
	v_sub_nc_u16 v0, v0, v1
	v_lshrrev_b32_e32 v2, 1, v2
	s_delay_alu instid0(VALU_DEP_2) | instskip(SKIP_1) | instid1(VALU_DEP_3)
	v_and_b32_e32 v110, 0xffff, v0
	v_cmp_gt_u16_e32 vcc_lo, 0x50, v0
	v_lshl_add_u32 v2, v2, 1, v2
	s_delay_alu instid0(VALU_DEP_3) | instskip(SKIP_1) | instid1(VALU_DEP_3)
	v_lshlrev_b32_e32 v108, 3, v110
	v_or_b32_e32 v109, 0x280, v110
	v_sub_nc_u32_e32 v1, v92, v2
	v_or_b32_e32 v107, 0x500, v110
	s_delay_alu instid0(VALU_DEP_2) | instskip(NEXT) | instid1(VALU_DEP_1)
	v_mul_u32_u24_e32 v72, 0x550, v1
	v_lshlrev_b32_e32 v111, 3, v72
	s_and_saveexec_b32 s3, vcc_lo
	s_cbranch_execz .LBB0_3
; %bb.2:
	s_load_b64 s[4:5], s[0:1], 0x18
	s_delay_alu instid0(VALU_DEP_1)
	v_lshl_add_u32 v71, v110, 3, v111
	s_wait_kmcnt 0x0
	s_load_b128 s[8:11], s[4:5], 0x0
	s_wait_kmcnt 0x0
	v_mad_co_u64_u32 v[0:1], null, s10, v92, 0
	v_mad_co_u64_u32 v[2:3], null, s8, v110, 0
	;; [unrolled: 1-line block ×3, first 2 shown]
	s_mul_u64 s[4:5], s[8:9], 0x280
	s_delay_alu instid0(VALU_DEP_2) | instskip(SKIP_1) | instid1(VALU_DEP_3)
	v_mad_co_u64_u32 v[6:7], null, s11, v92, v[1:2]
	v_mad_co_u64_u32 v[7:8], null, s8, v107, 0
	;; [unrolled: 1-line block ×3, first 2 shown]
	s_clause 0x1
	global_load_b64 v[10:11], v108, s[12:13]
	global_load_b64 v[12:13], v108, s[12:13] offset:5120
	v_dual_mov_b32 v1, v6 :: v_dual_mov_b32 v6, v8
	s_delay_alu instid0(VALU_DEP_1) | instskip(NEXT) | instid1(VALU_DEP_2)
	v_lshlrev_b64_e32 v[0:1], 3, v[0:1]
	v_mad_co_u64_u32 v[14:15], null, s9, v107, v[6:7]
	v_mov_b32_e32 v3, v9
	v_mad_co_u64_u32 v[8:9], null, s9, v109, v[5:6]
	s_delay_alu instid0(VALU_DEP_4) | instskip(NEXT) | instid1(VALU_DEP_1)
	v_add_co_u32 v18, s2, s6, v0
	v_add_co_ci_u32_e64 v19, s2, s7, v1, s2
	s_delay_alu instid0(VALU_DEP_3) | instskip(SKIP_1) | instid1(VALU_DEP_2)
	v_dual_mov_b32 v5, v8 :: v_dual_mov_b32 v8, v14
	v_lshlrev_b64_e32 v[2:3], 3, v[2:3]
	v_lshlrev_b64_e32 v[4:5], 3, v[4:5]
	s_delay_alu instid0(VALU_DEP_3) | instskip(NEXT) | instid1(VALU_DEP_3)
	v_lshlrev_b64_e32 v[6:7], 3, v[7:8]
	v_add_co_u32 v0, s2, v18, v2
	s_wait_alu 0xf1ff
	s_delay_alu instid0(VALU_DEP_4) | instskip(SKIP_1) | instid1(VALU_DEP_2)
	v_add_co_ci_u32_e64 v1, s2, v19, v3, s2
	s_wait_alu 0xfffe
	v_add_co_u32 v2, s2, v0, s4
	s_wait_alu 0xf1ff
	s_delay_alu instid0(VALU_DEP_2) | instskip(SKIP_4) | instid1(VALU_DEP_2)
	v_add_co_ci_u32_e64 v3, s2, s5, v1, s2
	global_load_b64 v[0:1], v[0:1], off
	v_add_co_u32 v14, s2, v2, s4
	s_wait_alu 0xf1ff
	v_add_co_ci_u32_e64 v15, s2, s5, v3, s2
	v_add_co_u32 v8, s2, v14, s4
	s_wait_alu 0xf1ff
	s_delay_alu instid0(VALU_DEP_2)
	v_add_co_ci_u32_e64 v9, s2, s5, v15, s2
	v_add_co_u32 v4, s2, v18, v4
	s_wait_alu 0xf1ff
	v_add_co_ci_u32_e64 v5, s2, v19, v5, s2
	v_add_co_u32 v16, s2, v8, s4
	s_wait_alu 0xf1ff
	v_add_co_ci_u32_e64 v17, s2, s5, v9, s2
	global_load_b64 v[4:5], v[4:5], off
	v_add_co_u32 v6, s2, v18, v6
	s_wait_alu 0xf1ff
	v_add_co_ci_u32_e64 v7, s2, v19, v7, s2
	v_add_co_u32 v18, s2, v16, s4
	s_wait_alu 0xf1ff
	v_add_co_ci_u32_e64 v19, s2, s5, v17, s2
	global_load_b64 v[24:25], v108, s[12:13] offset:10240
	s_clause 0x1
	global_load_b64 v[6:7], v[6:7], off
	global_load_b64 v[2:3], v[2:3], off
	s_clause 0x2
	global_load_b64 v[28:29], v108, s[12:13] offset:640
	global_load_b64 v[30:31], v108, s[12:13] offset:1280
	;; [unrolled: 1-line block ×3, first 2 shown]
	s_clause 0x1
	global_load_b64 v[14:15], v[14:15], off
	global_load_b64 v[8:9], v[8:9], off
	s_clause 0x3
	global_load_b64 v[34:35], v108, s[12:13] offset:2560
	global_load_b64 v[36:37], v108, s[12:13] offset:3200
	;; [unrolled: 1-line block ×4, first 2 shown]
	global_load_b64 v[16:17], v[16:17], off
	v_add_co_u32 v20, s2, v18, s4
	s_wait_alu 0xf1ff
	v_add_co_ci_u32_e64 v21, s2, s5, v19, s2
	s_delay_alu instid0(VALU_DEP_2) | instskip(SKIP_1) | instid1(VALU_DEP_2)
	v_add_co_u32 v22, s2, v20, s4
	s_wait_alu 0xf1ff
	v_add_co_ci_u32_e64 v23, s2, s5, v21, s2
	s_delay_alu instid0(VALU_DEP_1) | instskip(NEXT) | instid1(VALU_DEP_1)
	v_mad_co_u64_u32 v[26:27], null, 0x500, s8, v[22:23]
	v_add_co_u32 v53, s2, v26, s4
	s_wait_loadcnt 0xe
	v_mul_f32_e32 v69, v1, v11
	v_mul_f32_e32 v70, v0, v11
	s_delay_alu instid0(VALU_DEP_2) | instskip(NEXT) | instid1(VALU_DEP_2)
	v_fmac_f32_e32 v69, v0, v10
	v_fma_f32 v70, v1, v10, -v70
	s_wait_loadcnt 0xd
	v_mul_f32_e32 v11, v5, v13
	s_wait_loadcnt 0x9
	v_mad_co_u64_u32 v[42:43], null, 0x500, s9, v[27:28]
	s_clause 0x2
	global_load_b64 v[43:44], v108, s[12:13] offset:5760
	global_load_b64 v[45:46], v108, s[12:13] offset:6400
	;; [unrolled: 1-line block ×3, first 2 shown]
	global_load_b64 v[18:19], v[18:19], off
	s_clause 0x1
	global_load_b64 v[49:50], v108, s[12:13] offset:7680
	global_load_b64 v[51:52], v108, s[12:13] offset:8320
	global_load_b64 v[20:21], v[20:21], off
	global_load_b64 v[22:23], v[22:23], off
	v_mul_f32_e32 v13, v4, v13
	s_wait_loadcnt 0xd
	v_dual_fmac_f32 v11, v4, v12 :: v_dual_mul_f32 v4, v9, v33
	v_dual_mov_b32 v27, v42 :: v_dual_add_nc_u32 v42, v111, v108
	v_mul_f32_e32 v0, v3, v29
	s_delay_alu instid0(VALU_DEP_3) | instskip(NEXT) | instid1(VALU_DEP_3)
	v_dual_mul_f32 v1, v2, v29 :: v_dual_fmac_f32 v4, v8, v32
	v_add_nc_u32_e32 v76, 0x800, v42
	s_wait_alu 0xf1ff
	v_add_co_ci_u32_e64 v54, s2, s5, v27, s2
	v_add_co_u32 v55, s2, v53, s4
	global_load_b64 v[26:27], v[26:27], off
	s_wait_alu 0xf1ff
	v_add_co_ci_u32_e64 v56, s2, s5, v54, s2
	v_add_co_u32 v57, s2, v55, s4
	global_load_b64 v[53:54], v[53:54], off
	;; [unrolled: 4-line block ×5, first 2 shown]
	s_wait_alu 0xf1ff
	v_add_co_ci_u32_e64 v64, s2, s5, v62, s2
	global_load_b64 v[61:62], v[61:62], off
	s_clause 0x1
	global_load_b64 v[65:66], v108, s[12:13] offset:8960
	global_load_b64 v[67:68], v108, s[12:13] offset:9600
	global_load_b64 v[63:64], v[63:64], off
	v_add_nc_u32_e32 v78, 0x1400, v42
	v_add_nc_u32_e32 v75, 0x400, v42
	;; [unrolled: 1-line block ×4, first 2 shown]
	v_dual_fmac_f32 v0, v2, v28 :: v_dual_add_nc_u32 v79, 0x1800, v42
	v_mul_f32_e32 v2, v15, v31
	v_mul_f32_e32 v73, v7, v25
	;; [unrolled: 1-line block ×3, first 2 shown]
	v_fma_f32 v12, v5, v12, -v13
	v_mul_f32_e32 v5, v14, v31
	v_fmac_f32_e32 v2, v14, v30
	s_wait_loadcnt 0x11
	v_dual_fmac_f32 v73, v6, v24 :: v_dual_mul_f32 v6, v17, v35
	v_fma_f32 v74, v7, v24, -v25
	v_mul_f32_e32 v7, v8, v33
	v_fma_f32 v1, v3, v28, -v1
	v_fma_f32 v3, v15, v30, -v5
	v_fmac_f32_e32 v6, v16, v34
	ds_store_b64 v71, v[69:70]
	s_wait_loadcnt 0xa
	v_dual_mul_f32 v8, v19, v37 :: v_dual_mul_f32 v13, v21, v39
	v_mul_f32_e32 v10, v20, v39
	s_delay_alu instid0(VALU_DEP_2)
	v_fmac_f32_e32 v8, v18, v36
	v_fma_f32 v5, v9, v32, -v7
	s_wait_loadcnt 0x9
	v_dual_mul_f32 v7, v16, v35 :: v_dual_mul_f32 v16, v22, v41
	v_mul_f32_e32 v9, v18, v37
	v_mul_f32_e32 v15, v23, v41
	v_fma_f32 v14, v21, v38, -v10
	s_delay_alu instid0(VALU_DEP_4)
	v_fma_f32 v7, v17, v34, -v7
	ds_store_2addr_b64 v42, v[0:1], v[2:3] offset0:80 offset1:160
	ds_store_2addr_b64 v75, v[4:5], v[6:7] offset0:112 offset1:192
	v_fma_f32 v9, v19, v36, -v9
	v_fma_f32 v16, v23, v40, -v16
	s_wait_loadcnt 0x8
	v_mul_f32_e32 v0, v27, v44
	s_wait_loadcnt 0x7
	v_mul_f32_e32 v2, v54, v46
	s_delay_alu instid0(VALU_DEP_2) | instskip(SKIP_2) | instid1(VALU_DEP_3)
	v_dual_fmac_f32 v13, v20, v38 :: v_dual_fmac_f32 v0, v26, v43
	s_wait_loadcnt 0x6
	v_dual_mul_f32 v3, v53, v46 :: v_dual_mul_f32 v4, v56, v48
	v_dual_fmac_f32 v15, v22, v40 :: v_dual_fmac_f32 v2, v53, v45
	v_mul_f32_e32 v5, v55, v48
	s_delay_alu instid0(VALU_DEP_3)
	v_dual_mul_f32 v1, v26, v44 :: v_dual_fmac_f32 v4, v55, v47
	s_wait_loadcnt 0x5
	v_mul_f32_e32 v6, v58, v50
	ds_store_2addr_b64 v76, v[8:9], v[13:14] offset0:144 offset1:224
	ds_store_2addr_b64 v77, v[15:16], v[11:12] offset0:48 offset1:128
	v_fma_f32 v1, v27, v43, -v1
	s_wait_loadcnt 0x4
	v_dual_mul_f32 v8, v60, v52 :: v_dual_mul_f32 v7, v57, v50
	v_dual_fmac_f32 v6, v57, v49 :: v_dual_mul_f32 v9, v59, v52
	s_wait_loadcnt 0x0
	v_dual_mul_f32 v10, v62, v66 :: v_dual_mul_f32 v13, v63, v68
	v_dual_mul_f32 v11, v61, v66 :: v_dual_mul_f32 v12, v64, v68
	v_fma_f32 v3, v54, v45, -v3
	v_fma_f32 v5, v56, v47, -v5
	v_fmac_f32_e32 v8, v59, v51
	v_fma_f32 v7, v58, v49, -v7
	v_fma_f32 v9, v60, v51, -v9
	v_fmac_f32_e32 v10, v61, v65
	v_fma_f32 v11, v62, v65, -v11
	v_fmac_f32_e32 v12, v63, v67
	v_fma_f32 v13, v64, v67, -v13
	v_add_nc_u32_e32 v14, 0x2400, v42
	ds_store_2addr_b64 v78, v[0:1], v[2:3] offset0:80 offset1:160
	ds_store_2addr_b64 v79, v[4:5], v[6:7] offset0:112 offset1:192
	;; [unrolled: 1-line block ×4, first 2 shown]
.LBB0_3:
	s_or_b32 exec_lo, exec_lo, s3
	v_mov_b32_e32 v0, 0
	v_mov_b32_e32 v1, 0
                                        ; kill: def $vgpr2 killed $sgpr0 killed $exec
	global_wb scope:SCOPE_SE
	s_wait_dscnt 0x0
	s_wait_kmcnt 0x0
	s_barrier_signal -1
	s_barrier_wait -1
	global_inv scope:SCOPE_SE
                                        ; implicit-def: $vgpr6
                                        ; implicit-def: $vgpr32
                                        ; implicit-def: $vgpr10
                                        ; implicit-def: $vgpr14
                                        ; implicit-def: $vgpr22
                                        ; implicit-def: $vgpr26
                                        ; implicit-def: $vgpr30
                                        ; implicit-def: $vgpr18
	s_and_saveexec_b32 s2, vcc_lo
	s_cbranch_execz .LBB0_5
; %bb.4:
	v_lshl_add_u32 v32, v72, 3, v108
	ds_load_2addr_b64 v[0:3], v32 offset1:80
	ds_load_2addr_b64 v[16:19], v32 offset0:160 offset1:240
	v_add_nc_u32_e32 v4, 0x800, v32
	v_add_nc_u32_e32 v5, 0xc00, v32
	;; [unrolled: 1-line block ×6, first 2 shown]
	ds_load_2addr_b64 v[28:31], v4 offset0:64 offset1:144
	ds_load_2addr_b64 v[24:27], v5 offset0:96 offset1:176
	;; [unrolled: 1-line block ×6, first 2 shown]
	ds_load_b64 v[32:33], v32 offset:10240
.LBB0_5:
	s_wait_alu 0xfffe
	s_or_b32 exec_lo, exec_lo, s2
	s_wait_dscnt 0x0
	v_dual_sub_f32 v42, v3, v33 :: v_dual_add_f32 v69, v32, v2
	v_dual_sub_f32 v78, v2, v32 :: v_dual_add_f32 v103, v33, v3
	v_dual_sub_f32 v84, v16, v6 :: v_dual_sub_f32 v45, v19, v5
	s_delay_alu instid0(VALU_DEP_3) | instskip(NEXT) | instid1(VALU_DEP_3)
	v_dual_mul_f32 v46, 0xbeb8f4ab, v42 :: v_dual_add_f32 v71, v6, v16
	v_dual_mul_f32 v47, 0xbeb8f4ab, v78 :: v_dual_sub_f32 v44, v17, v7
	v_mul_f32_e32 v67, 0xbf2c7751, v78
	v_dual_mul_f32 v58, 0xbf2c7751, v42 :: v_dual_add_f32 v115, v7, v17
	s_delay_alu instid0(VALU_DEP_3) | instskip(SKIP_4) | instid1(VALU_DEP_4)
	v_fma_f32 v35, 0x3f6eb680, v103, -v47
	v_fmamk_f32 v34, v69, 0x3f6eb680, v46
	v_mul_f32_e32 v48, 0xbf2c7751, v44
	v_fma_f32 v37, 0x3f3d2fb0, v103, -v67
	v_sub_f32_e32 v89, v28, v10
	v_dual_add_f32 v35, v35, v1 :: v_dual_add_f32 v34, v34, v0
	s_delay_alu instid0(VALU_DEP_3) | instskip(SKIP_2) | instid1(VALU_DEP_3)
	v_dual_fmamk_f32 v38, v71, 0x3f3d2fb0, v48 :: v_dual_add_f32 v37, v37, v1
	v_mul_f32_e32 v49, 0xbf2c7751, v84
	v_dual_mul_f32 v65, 0xbf7ee86f, v44 :: v_dual_add_f32 v80, v4, v18
	v_add_f32_e32 v34, v38, v34
	v_dual_sub_f32 v88, v18, v4 :: v_dual_mul_f32 v75, 0xbf4c4adb, v45
	s_delay_alu instid0(VALU_DEP_4) | instskip(SKIP_1) | instid1(VALU_DEP_3)
	v_fma_f32 v38, 0x3f3d2fb0, v115, -v49
	v_fmamk_f32 v36, v69, 0x3f3d2fb0, v58
	v_dual_mul_f32 v50, 0xbf65296c, v45 :: v_dual_mul_f32 v51, 0xbf65296c, v88
	v_dual_add_f32 v112, v5, v19 :: v_dual_mul_f32 v81, 0xbf4c4adb, v88
	s_delay_alu instid0(VALU_DEP_4) | instskip(SKIP_2) | instid1(VALU_DEP_3)
	v_dual_add_f32 v35, v38, v35 :: v_dual_mul_f32 v76, 0xbf7ee86f, v84
	v_dual_fmamk_f32 v38, v71, 0x3dbcf732, v65 :: v_dual_sub_f32 v93, v30, v8
	v_dual_sub_f32 v148, v29, v11 :: v_dual_mul_f32 v83, 0xbe3c28d5, v89
	v_fma_f32 v39, 0x3dbcf732, v115, -v76
	v_add_f32_e32 v36, v36, v0
	s_delay_alu instid0(VALU_DEP_3) | instskip(SKIP_1) | instid1(VALU_DEP_3)
	v_dual_add_f32 v116, v11, v29 :: v_dual_mul_f32 v79, 0xbe3c28d5, v148
	v_mul_f32_e32 v53, 0xbf7ee86f, v89
	v_dual_add_f32 v37, v39, v37 :: v_dual_add_f32 v36, v38, v36
	v_fma_f32 v38, 0x3ee437d1, v112, -v51
	v_fma_f32 v39, 0xbf1a4643, v112, -v81
	v_fmamk_f32 v40, v80, 0x3ee437d1, v50
	v_dual_add_f32 v82, v10, v28 :: v_dual_add_f32 v123, v9, v31
	s_delay_alu instid0(VALU_DEP_4) | instskip(SKIP_1) | instid1(VALU_DEP_4)
	v_dual_add_f32 v35, v38, v35 :: v_dual_fmamk_f32 v38, v80, 0xbf1a4643, v75
	v_add_f32_e32 v91, v14, v24
	v_dual_add_f32 v37, v39, v37 :: v_dual_add_f32 v34, v40, v34
	s_delay_alu instid0(VALU_DEP_3) | instskip(SKIP_4) | instid1(VALU_DEP_3)
	v_dual_sub_f32 v149, v31, v9 :: v_dual_add_f32 v36, v38, v36
	v_mul_f32_e32 v55, 0xbf763a35, v93
	v_fma_f32 v38, 0x3dbcf732, v116, -v53
	v_mul_f32_e32 v52, 0xbf7ee86f, v148
	v_dual_add_f32 v86, v8, v30 :: v_dual_mul_f32 v87, 0x3f06c442, v93
	v_dual_sub_f32 v96, v24, v14 :: v_dual_add_f32 v35, v38, v35
	s_delay_alu instid0(VALU_DEP_3) | instskip(SKIP_2) | instid1(VALU_DEP_3)
	v_dual_fmamk_f32 v40, v82, 0x3dbcf732, v52 :: v_dual_sub_f32 v145, v27, v13
	v_fma_f32 v38, 0xbe8c1d8e, v123, -v55
	v_mul_f32_e32 v54, 0xbf763a35, v149
	v_dual_fmamk_f32 v39, v82, 0xbf7ba420, v79 :: v_dual_add_f32 v34, v40, v34
	v_fma_f32 v40, 0xbf7ba420, v116, -v83
	v_dual_sub_f32 v146, v25, v15 :: v_dual_mul_f32 v57, 0xbf4c4adb, v96
	v_dual_add_f32 v126, v15, v25 :: v_dual_add_f32 v35, v38, v35
	s_delay_alu instid0(VALU_DEP_4) | instskip(NEXT) | instid1(VALU_DEP_4)
	v_dual_fmamk_f32 v41, v86, 0xbe8c1d8e, v54 :: v_dual_add_f32 v36, v39, v36
	v_add_f32_e32 v37, v40, v37
	v_fma_f32 v40, 0xbf59a7d5, v123, -v87
	v_mul_f32_e32 v73, 0x3f763a35, v146
	s_delay_alu instid0(VALU_DEP_4) | instskip(SKIP_4) | instid1(VALU_DEP_4)
	v_add_f32_e32 v34, v41, v34
	v_mul_f32_e32 v56, 0xbf4c4adb, v146
	v_fma_f32 v38, 0xbf1a4643, v126, -v57
	v_add_f32_e32 v37, v40, v37
	v_mul_f32_e32 v68, 0x3f06c442, v149
	v_dual_sub_f32 v98, v26, v12 :: v_dual_fmamk_f32 v41, v91, 0xbf1a4643, v56
	s_delay_alu instid0(VALU_DEP_4) | instskip(SKIP_1) | instid1(VALU_DEP_4)
	v_dual_add_f32 v35, v38, v35 :: v_dual_fmamk_f32 v38, v91, 0xbe8c1d8e, v73
	v_sub_f32_e32 v147, v21, v23
	v_fmamk_f32 v39, v86, 0xbf59a7d5, v68
	v_dual_mul_f32 v90, 0x3f763a35, v96 :: v_dual_add_f32 v127, v13, v27
	v_dual_add_f32 v34, v41, v34 :: v_dual_mul_f32 v77, 0x3f65296c, v145
	s_delay_alu instid0(VALU_DEP_3) | instskip(SKIP_1) | instid1(VALU_DEP_4)
	v_dual_add_f32 v36, v39, v36 :: v_dual_mul_f32 v59, 0xbf06c442, v145
	v_mul_f32_e32 v64, 0xbf06c442, v98
	v_fma_f32 v39, 0xbe8c1d8e, v126, -v90
	v_add_f32_e32 v94, v12, v26
	s_delay_alu instid0(VALU_DEP_4) | instskip(NEXT) | instid1(VALU_DEP_4)
	v_dual_add_f32 v36, v38, v36 :: v_dual_mul_f32 v95, 0x3f65296c, v98
	v_fma_f32 v38, 0xbf59a7d5, v127, -v64
	s_delay_alu instid0(VALU_DEP_3)
	v_dual_add_f32 v37, v39, v37 :: v_dual_fmamk_f32 v40, v94, 0xbf59a7d5, v59
	v_sub_f32_e32 v99, v20, v22
	v_fmamk_f32 v41, v94, 0x3ee437d1, v77
	s_clause 0x1
	s_load_b64 s[4:5], s[0:1], 0x20
	s_load_b64 s[2:3], s[0:1], 0x8
	v_dual_add_f32 v35, v38, v35 :: v_dual_add_f32 v34, v40, v34
	v_fma_f32 v38, 0x3ee437d1, v127, -v95
	v_dual_add_f32 v36, v41, v36 :: v_dual_mul_f32 v85, 0x3eb8f4ab, v99
	v_dual_add_f32 v97, v22, v20 :: v_dual_add_f32 v128, v23, v21
	s_delay_alu instid0(VALU_DEP_3)
	v_dual_mul_f32 v66, 0xbe3c28d5, v147 :: v_dual_add_f32 v37, v38, v37
	v_mul_f32_e32 v74, 0x3eb8f4ab, v147
	global_wb scope:SCOPE_SE
	v_fma_f32 v41, 0x3f6eb680, v128, -v85
	v_mul_f32_e32 v70, 0xbe3c28d5, v99
	s_wait_kmcnt 0x0
	s_barrier_signal -1
	v_fmamk_f32 v40, v97, 0x3f6eb680, v74
	s_barrier_wait -1
	v_add_f32_e32 v61, v41, v37
	v_fma_f32 v39, 0xbf7ba420, v128, -v70
	v_fmamk_f32 v38, v97, 0xbf7ba420, v66
	v_add_f32_e32 v60, v40, v36
	global_inv scope:SCOPE_SE
	v_dual_add_f32 v63, v39, v35 :: v_dual_add_f32 v62, v38, v34
	s_and_saveexec_b32 s0, vcc_lo
	s_cbranch_execz .LBB0_7
; %bb.6:
	v_mul_f32_e32 v121, 0x3ee437d1, v103
	v_mul_f32_e32 v117, 0x3e3c28d5, v45
	v_dual_mul_f32 v106, 0xbf7ba420, v112 :: v_dual_mul_f32 v131, 0xbf7ba420, v115
	v_mul_f32_e32 v120, 0xbf65296c, v42
	v_mul_f32_e32 v118, 0xbf4c4adb, v44
	s_delay_alu instid0(VALU_DEP_4) | instskip(SKIP_4) | instid1(VALU_DEP_4)
	v_fmamk_f32 v39, v80, 0xbf7ba420, v117
	v_fmamk_f32 v34, v78, 0x3f65296c, v121
	;; [unrolled: 1-line block ×3, first 2 shown]
	v_mul_f32_e32 v167, 0xbe8c1d8e, v115
	v_mul_f32_e32 v139, 0xbf06c442, v146
	v_dual_mul_f32 v157, 0xbf59a7d5, v115 :: v_dual_add_f32 v34, v34, v1
	v_mul_f32_e32 v119, 0xbf1a4643, v115
	s_delay_alu instid0(VALU_DEP_4) | instskip(SKIP_1) | instid1(VALU_DEP_4)
	v_fmamk_f32 v164, v84, 0xbf763a35, v167
	v_fmamk_f32 v38, v71, 0xbf1a4643, v118
	v_dual_mul_f32 v124, 0xbf06c442, v147 :: v_dual_fmamk_f32 v41, v84, 0xbf06c442, v157
	s_delay_alu instid0(VALU_DEP_4) | instskip(SKIP_3) | instid1(VALU_DEP_4)
	v_fmamk_f32 v35, v84, 0x3f4c4adb, v119
	v_mul_f32_e32 v125, 0xbeb8f4ab, v146
	v_mul_f32_e32 v132, 0xbe8c1d8e, v112
	v_dual_mul_f32 v122, 0xbf7ee86f, v145 :: v_dual_mul_f32 v141, 0xbf7ee86f, v42
	v_dual_add_f32 v34, v35, v34 :: v_dual_mul_f32 v105, 0xbe8c1d8e, v116
	v_mul_f32_e32 v135, 0x3ee437d1, v123
	v_mul_f32_e32 v129, 0xbf59a7d5, v126
	;; [unrolled: 1-line block ×3, first 2 shown]
	s_delay_alu instid0(VALU_DEP_4) | instskip(SKIP_4) | instid1(VALU_DEP_4)
	v_dual_add_f32 v34, v36, v34 :: v_dual_fmamk_f32 v35, v89, 0xbf763a35, v105
	v_fmamk_f32 v36, v69, 0x3ee437d1, v120
	v_mul_f32_e32 v104, 0x3f3d2fb0, v123
	v_mul_f32_e32 v101, 0x3dbcf732, v127
	;; [unrolled: 1-line block ×3, first 2 shown]
	v_dual_add_f32 v34, v35, v34 :: v_dual_add_f32 v35, v36, v0
	v_mul_f32_e32 v102, 0x3f6eb680, v126
	v_mul_f32_e32 v143, 0x3eb8f4ab, v148
	;; [unrolled: 1-line block ×3, first 2 shown]
	v_fmamk_f32 v165, v88, 0x3eb8f4ab, v168
	s_delay_alu instid0(VALU_DEP_4) | instskip(SKIP_1) | instid1(VALU_DEP_2)
	v_dual_add_f32 v35, v38, v35 :: v_dual_fmamk_f32 v36, v96, 0x3eb8f4ab, v102
	v_dual_mul_f32 v144, 0xbf65296c, v149 :: v_dual_mul_f32 v161, 0xbf65296c, v148
	v_dual_mul_f32 v172, 0xbf4c4adb, v42 :: v_dual_add_f32 v35, v39, v35
	v_fmamk_f32 v39, v84, 0x3e3c28d5, v131
	v_fmamk_f32 v37, v93, 0xbf2c7751, v104
	v_mul_f32_e32 v154, 0xbf1a4643, v128
	v_mul_f32_e32 v140, 0x3f4c4adb, v145
	;; [unrolled: 1-line block ×4, first 2 shown]
	v_dual_add_f32 v34, v37, v34 :: v_dual_fmamk_f32 v37, v98, 0x3f7ee86f, v101
	v_mul_f32_e32 v156, 0xbe8c1d8e, v103
	v_fmamk_f32 v43, v94, 0xbf1a4643, v140
	v_mul_f32_e32 v174, 0x3f763a35, v44
	s_delay_alu instid0(VALU_DEP_4) | instskip(SKIP_3) | instid1(VALU_DEP_4)
	v_dual_add_f32 v34, v36, v34 :: v_dual_mul_f32 v113, 0x3f2c7751, v149
	v_mul_f32_e32 v189, 0x3f65296c, v44
	v_mul_f32_e32 v178, 0x3ee437d1, v128
	;; [unrolled: 1-line block ×3, first 2 shown]
	v_add_f32_e32 v34, v37, v34
	v_mul_f32_e32 v114, 0x3f763a35, v148
	v_fmamk_f32 v37, v86, 0x3f3d2fb0, v113
	v_fmamk_f32 v191, v71, 0x3ee437d1, v189
	;; [unrolled: 1-line block ×5, first 2 shown]
	v_mul_f32_e32 v100, 0xbf59a7d5, v128
	v_mul_f32_e32 v150, 0xbf7ba420, v123
	;; [unrolled: 1-line block ×3, first 2 shown]
	v_dual_mul_f32 v137, 0x3f2c7751, v147 :: v_dual_mul_f32 v160, 0x3f2c7751, v45
	s_delay_alu instid0(VALU_DEP_4) | instskip(NEXT) | instid1(VALU_DEP_3)
	v_dual_add_f32 v35, v38, v35 :: v_dual_fmamk_f32 v36, v99, 0x3f06c442, v100
	v_fmamk_f32 v188, v69, 0xbf59a7d5, v186
	v_mul_f32_e32 v159, 0x3f06c442, v44
	v_mul_f32_e32 v187, 0xbe3c28d5, v145
	s_delay_alu instid0(VALU_DEP_4) | instskip(NEXT) | instid1(VALU_DEP_4)
	v_add_f32_e32 v35, v37, v35
	v_dual_fmamk_f32 v37, v91, 0x3f6eb680, v125 :: v_dual_add_f32 v188, v188, v0
	v_mul_f32_e32 v193, 0x3f65296c, v147
	v_mul_f32_e32 v177, 0xbeb8f4ab, v45
	;; [unrolled: 1-line block ×3, first 2 shown]
	s_delay_alu instid0(VALU_DEP_4) | instskip(SKIP_4) | instid1(VALU_DEP_4)
	v_add_f32_e32 v37, v37, v35
	v_dual_mul_f32 v134, 0x3dbcf732, v103 :: v_dual_add_f32 v35, v36, v34
	v_fmamk_f32 v36, v93, 0x3f65296c, v135
	v_mul_f32_e32 v133, 0x3f6eb680, v116
	v_add_f32_e32 v188, v191, v188
	v_fmamk_f32 v40, v78, 0x3f7ee86f, v134
	v_dual_mul_f32 v180, 0x3ee437d1, v115 :: v_dual_fmamk_f32 v197, v97, 0x3ee437d1, v193
	v_mul_f32_e32 v166, 0xbf1a4643, v103
	v_mul_f32_e32 v162, 0xbe3c28d5, v149
	s_delay_alu instid0(VALU_DEP_4) | instskip(NEXT) | instid1(VALU_DEP_4)
	v_add_f32_e32 v40, v40, v1
	v_fmamk_f32 v182, v84, 0xbf65296c, v180
	v_mul_f32_e32 v163, 0x3f7ee86f, v146
	v_mul_f32_e32 v192, 0xbf7ee86f, v45
	;; [unrolled: 1-line block ×3, first 2 shown]
	v_dual_add_f32 v38, v39, v40 :: v_dual_fmamk_f32 v39, v88, 0xbf763a35, v132
	v_fmamk_f32 v40, v94, 0x3dbcf732, v122
	s_delay_alu instid0(VALU_DEP_4) | instskip(SKIP_1) | instid1(VALU_DEP_4)
	v_fmamk_f32 v191, v80, 0x3dbcf732, v192
	v_mul_f32_e32 v185, 0xbf1a4643, v116
	v_dual_mul_f32 v207, 0x3eb8f4ab, v44 :: v_dual_add_f32 v38, v39, v38
	v_fmamk_f32 v39, v89, 0xbeb8f4ab, v133
	v_mul_f32_e32 v190, 0x3f6eb680, v123
	v_mul_f32_e32 v202, 0x3f6eb680, v115
	s_delay_alu instid0(VALU_DEP_4)
	v_fmamk_f32 v208, v71, 0x3f6eb680, v207
	v_mul_f32_e32 v199, 0xbe3c28d5, v146
	v_add_f32_e32 v34, v39, v38
	v_fmamk_f32 v38, v97, 0xbf59a7d5, v124
	v_fmamk_f32 v39, v69, 0x3dbcf732, v141
	v_dual_add_f32 v37, v40, v37 :: v_dual_fmamk_f32 v40, v98, 0xbf4c4adb, v130
	s_delay_alu instid0(VALU_DEP_4)
	v_add_f32_e32 v34, v36, v34
	v_fmamk_f32 v36, v96, 0x3f06c442, v129
	v_mul_f32_e32 v195, 0xbf7ba420, v126
	v_fmamk_f32 v203, v84, 0xbeb8f4ab, v202
	v_mul_f32_e32 v200, 0x3f3d2fb0, v127
	v_mul_f32_e32 v184, 0xbf2c7751, v146
	v_add_f32_e32 v36, v36, v34
	v_dual_add_f32 v34, v38, v37 :: v_dual_add_f32 v37, v39, v0
	v_fmamk_f32 v38, v71, 0xbf7ba420, v142
	v_mul_f32_e32 v153, 0x3ee437d1, v116
	s_delay_alu instid0(VALU_DEP_4) | instskip(SKIP_1) | instid1(VALU_DEP_4)
	v_add_f32_e32 v36, v40, v36
	v_fmamk_f32 v40, v78, 0x3f763a35, v156
	v_dual_fmac_f32 v180, 0x3f65296c, v84 :: v_dual_add_f32 v37, v38, v37
	v_fmamk_f32 v38, v80, 0xbe8c1d8e, v138
	v_mul_f32_e32 v209, 0xbf06c442, v45
	s_delay_alu instid0(VALU_DEP_4)
	v_add_f32_e32 v40, v40, v1
	v_mul_f32_e32 v210, 0x3ee437d1, v126
	v_mul_f32_e32 v171, 0x3f3d2fb0, v126
	v_add_f32_e32 v37, v38, v37
	v_fmamk_f32 v38, v82, 0x3f6eb680, v143
	v_add_f32_e32 v40, v41, v40
	v_mul_f32_e32 v169, 0xbf59a7d5, v116
	v_mul_f32_e32 v173, 0xbf7ba420, v127
	;; [unrolled: 1-line block ×3, first 2 shown]
	v_add_f32_e32 v37, v38, v37
	v_fmamk_f32 v38, v86, 0x3ee437d1, v144
	v_mul_f32_e32 v181, 0x3f7ee86f, v149
	v_mul_f32_e32 v204, 0xbf59a7d5, v112
	v_fmac_f32_e32 v131, 0xbe3c28d5, v84
	v_fmac_f32_e32 v135, 0xbf65296c, v93
	v_dual_add_f32 v37, v38, v37 :: v_dual_fmamk_f32 v38, v91, 0xbf59a7d5, v139
	v_fmamk_f32 v39, v99, 0xbf2c7751, v136
	v_fmac_f32_e32 v105, 0x3f763a35, v89
	v_dual_fmac_f32 v101, 0xbf7ee86f, v98 :: v_dual_add_f32 v2, v2, v0
	s_delay_alu instid0(VALU_DEP_4) | instskip(NEXT) | instid1(VALU_DEP_4)
	v_dual_add_f32 v38, v38, v37 :: v_dual_mul_f32 v155, 0x3f3d2fb0, v112
	v_add_f32_e32 v37, v39, v36
	s_delay_alu instid0(VALU_DEP_3) | instskip(NEXT) | instid1(VALU_DEP_3)
	v_dual_fmamk_f32 v39, v93, 0x3e3c28d5, v150 :: v_dual_add_f32 v2, v16, v2
	v_dual_add_f32 v38, v43, v38 :: v_dual_fmamk_f32 v41, v88, 0xbf2c7751, v155
	s_delay_alu instid0(VALU_DEP_2) | instskip(NEXT) | instid1(VALU_DEP_2)
	v_add_f32_e32 v18, v18, v2
	v_add_f32_e32 v40, v41, v40
	s_delay_alu instid0(VALU_DEP_2) | instskip(NEXT) | instid1(VALU_DEP_1)
	v_dual_fmamk_f32 v41, v89, 0x3f65296c, v153 :: v_dual_add_f32 v18, v28, v18
	v_add_f32_e32 v36, v41, v40
	v_fmamk_f32 v41, v69, 0xbe8c1d8e, v158
	v_mul_f32_e32 v151, 0x3dbcf732, v126
	v_fmamk_f32 v40, v97, 0x3f3d2fb0, v137
	v_add_f32_e32 v18, v30, v18
	s_delay_alu instid0(VALU_DEP_3) | instskip(NEXT) | instid1(VALU_DEP_1)
	v_dual_add_f32 v36, v39, v36 :: v_dual_fmamk_f32 v39, v96, 0xbf7ee86f, v151
	v_dual_add_f32 v39, v39, v36 :: v_dual_add_f32 v36, v40, v38
	v_add_f32_e32 v38, v41, v0
	v_fmamk_f32 v40, v71, 0xbf59a7d5, v159
	s_delay_alu instid0(VALU_DEP_1) | instskip(SKIP_1) | instid1(VALU_DEP_1)
	v_dual_fmamk_f32 v41, v99, 0x3f4c4adb, v154 :: v_dual_add_f32 v38, v40, v38
	v_fmamk_f32 v40, v80, 0x3f3d2fb0, v160
	v_add_f32_e32 v38, v40, v38
	v_fmamk_f32 v40, v82, 0x3ee437d1, v161
	v_fmamk_f32 v43, v98, 0x3eb8f4ab, v152
	v_fma_f32 v159, 0xbf59a7d5, v71, -v159
	s_delay_alu instid0(VALU_DEP_2) | instskip(SKIP_2) | instid1(VALU_DEP_2)
	v_dual_add_f32 v38, v40, v38 :: v_dual_add_f32 v39, v43, v39
	v_fmamk_f32 v40, v86, 0xbf7ba420, v162
	v_fmamk_f32 v43, v78, 0x3f4c4adb, v166
	v_dual_add_f32 v39, v41, v39 :: v_dual_add_f32 v38, v40, v38
	s_delay_alu instid0(VALU_DEP_2) | instskip(NEXT) | instid1(VALU_DEP_1)
	v_add_f32_e32 v43, v43, v1
	v_dual_fmamk_f32 v40, v91, 0x3dbcf732, v163 :: v_dual_add_f32 v43, v164, v43
	v_mul_f32_e32 v164, 0xbeb8f4ab, v145
	s_delay_alu instid0(VALU_DEP_2) | instskip(NEXT) | instid1(VALU_DEP_2)
	v_dual_add_f32 v38, v40, v38 :: v_dual_add_f32 v43, v165, v43
	v_fmamk_f32 v40, v94, 0x3f6eb680, v164
	s_delay_alu instid0(VALU_DEP_1) | instskip(NEXT) | instid1(VALU_DEP_1)
	v_dual_fmamk_f32 v165, v89, 0x3f06c442, v169 :: v_dual_add_f32 v38, v40, v38
	v_add_f32_e32 v41, v165, v43
	v_mul_f32_e32 v165, 0xbf4c4adb, v147
	v_fmac_f32_e32 v136, 0x3f2c7751, v99
	v_fmac_f32_e32 v121, 0xbf65296c, v78
	s_delay_alu instid0(VALU_DEP_3) | instskip(NEXT) | instid1(VALU_DEP_2)
	v_fmamk_f32 v175, v97, 0xbf1a4643, v165
	v_dual_fmac_f32 v166, 0xbf4c4adb, v78 :: v_dual_add_f32 v121, v121, v1
	s_delay_alu instid0(VALU_DEP_2) | instskip(NEXT) | instid1(VALU_DEP_2)
	v_dual_add_f32 v38, v175, v38 :: v_dual_mul_f32 v175, 0xbf59a7d5, v103
	v_add_f32_e32 v166, v166, v1
	s_delay_alu instid0(VALU_DEP_2) | instskip(SKIP_1) | instid1(VALU_DEP_2)
	v_fmamk_f32 v179, v78, 0x3f06c442, v175
	v_fmac_f32_e32 v175, 0xbf06c442, v78
	v_add_f32_e32 v179, v179, v1
	s_delay_alu instid0(VALU_DEP_2) | instskip(SKIP_2) | instid1(VALU_DEP_4)
	v_add_f32_e32 v175, v175, v1
	v_fmac_f32_e32 v150, 0xbe3c28d5, v93
	v_fmac_f32_e32 v155, 0x3f2c7751, v88
	v_dual_add_f32 v179, v182, v179 :: v_dual_fmamk_f32 v182, v88, 0x3f7ee86f, v183
	v_mul_f32_e32 v170, 0x3dbcf732, v123
	v_fmac_f32_e32 v183, 0xbf7ee86f, v88
	s_delay_alu instid0(VALU_DEP_3) | instskip(NEXT) | instid1(VALU_DEP_3)
	v_add_f32_e32 v179, v182, v179
	v_fmamk_f32 v43, v93, 0xbf7ee86f, v170
	v_fmamk_f32 v182, v89, 0xbf4c4adb, v185
	s_delay_alu instid0(VALU_DEP_2) | instskip(SKIP_1) | instid1(VALU_DEP_3)
	v_dual_add_f32 v40, v43, v41 :: v_dual_fmamk_f32 v41, v96, 0x3f2c7751, v171
	v_fmamk_f32 v43, v69, 0xbf1a4643, v172
	v_dual_add_f32 v179, v182, v179 :: v_dual_fmamk_f32 v182, v93, 0x3eb8f4ab, v190
	v_fma_f32 v172, 0xbf1a4643, v69, -v172
	s_delay_alu instid0(VALU_DEP_4) | instskip(NEXT) | instid1(VALU_DEP_4)
	v_dual_add_f32 v40, v41, v40 :: v_dual_fmamk_f32 v41, v98, 0x3e3c28d5, v173
	v_add_f32_e32 v43, v43, v0
	s_delay_alu instid0(VALU_DEP_4) | instskip(SKIP_1) | instid1(VALU_DEP_3)
	v_dual_add_f32 v179, v182, v179 :: v_dual_fmamk_f32 v182, v96, 0x3e3c28d5, v195
	v_fmac_f32_e32 v168, 0xbeb8f4ab, v88
	v_dual_add_f32 v40, v41, v40 :: v_dual_add_f32 v41, v176, v43
	v_fmamk_f32 v43, v80, 0x3f6eb680, v177
	s_delay_alu instid0(VALU_DEP_4) | instskip(SKIP_1) | instid1(VALU_DEP_3)
	v_dual_mul_f32 v176, 0xbf06c442, v148 :: v_dual_add_f32 v179, v182, v179
	v_mul_f32_e32 v182, 0x3f2c7751, v145
	v_dual_mul_f32 v148, 0x3f2c7751, v148 :: v_dual_add_f32 v41, v43, v41
	s_delay_alu instid0(VALU_DEP_3) | instskip(SKIP_3) | instid1(VALU_DEP_4)
	v_fmamk_f32 v43, v82, 0xbf59a7d5, v176
	v_fmac_f32_e32 v167, 0x3f763a35, v84
	v_fma_f32 v177, 0x3f6eb680, v80, -v177
	v_fmac_f32_e32 v154, 0xbf4c4adb, v99
	v_dual_fmac_f32 v132, 0x3f763a35, v88 :: v_dual_add_f32 v41, v43, v41
	s_delay_alu instid0(VALU_DEP_4) | instskip(SKIP_3) | instid1(VALU_DEP_4)
	v_dual_fmamk_f32 v43, v86, 0x3dbcf732, v181 :: v_dual_add_f32 v166, v167, v166
	v_fmac_f32_e32 v134, 0xbf7ee86f, v78
	v_fma_f32 v176, 0xbf59a7d5, v82, -v176
	v_fmac_f32_e32 v151, 0x3f7ee86f, v96
	v_add_f32_e32 v41, v43, v41
	v_dual_fmamk_f32 v43, v91, 0x3f3d2fb0, v184 :: v_dual_add_f32 v166, v168, v166
	v_add_f32_e32 v134, v134, v1
	v_fmac_f32_e32 v178, 0x3f65296c, v99
	s_delay_alu instid0(VALU_DEP_3) | instskip(SKIP_1) | instid1(VALU_DEP_4)
	v_dual_mul_f32 v168, 0xbe8c1d8e, v86 :: v_dual_add_f32 v41, v43, v41
	v_fmamk_f32 v43, v94, 0xbf7ba420, v187
	v_add_f32_e32 v131, v131, v134
	v_fmac_f32_e32 v156, 0xbf763a35, v78
	v_fmac_f32_e32 v153, 0xbf65296c, v89
	;; [unrolled: 1-line block ×3, first 2 shown]
	v_add_f32_e32 v43, v43, v41
	v_dual_add_f32 v41, v191, v188 :: v_dual_fmamk_f32 v188, v82, 0xbf1a4643, v194
	v_mul_f32_e32 v191, 0xbeb8f4ab, v149
	v_mul_f32_e32 v149, 0xbf4c4adb, v149
	v_dual_add_f32 v156, v156, v1 :: v_dual_fmac_f32 v173, 0xbe3c28d5, v98
	s_delay_alu instid0(VALU_DEP_4) | instskip(NEXT) | instid1(VALU_DEP_4)
	v_add_f32_e32 v188, v188, v41
	v_dual_fmamk_f32 v198, v86, 0x3f6eb680, v191 :: v_dual_add_f32 v41, v196, v40
	v_add_f32_e32 v40, v197, v43
	v_mul_f32_e32 v196, 0xbf7ba420, v103
	v_fmamk_f32 v197, v98, 0xbf2c7751, v200
	s_delay_alu instid0(VALU_DEP_4) | instskip(SKIP_1) | instid1(VALU_DEP_4)
	v_dual_add_f32 v43, v198, v188 :: v_dual_fmamk_f32 v188, v91, 0xbf7ba420, v199
	v_fmamk_f32 v198, v94, 0x3f3d2fb0, v182
	v_fmamk_f32 v201, v78, 0x3e3c28d5, v196
	s_delay_alu instid0(VALU_DEP_4) | instskip(SKIP_2) | instid1(VALU_DEP_4)
	v_add_f32_e32 v179, v197, v179
	v_dual_fmac_f32 v195, 0xbe3c28d5, v96 :: v_dual_fmac_f32 v196, 0xbe3c28d5, v78
	v_dual_add_f32 v43, v188, v43 :: v_dual_mul_f32 v188, 0xbe8c1d8e, v128
	v_add_f32_e32 v201, v201, v1
	v_fmac_f32_e32 v190, 0xbeb8f4ab, v93
	s_delay_alu instid0(VALU_DEP_3) | instskip(NEXT) | instid1(VALU_DEP_4)
	v_dual_mul_f32 v167, 0x3dbcf732, v116 :: v_dual_add_f32 v198, v198, v43
	v_fmamk_f32 v197, v99, 0x3f763a35, v188
	v_fma_f32 v189, 0x3ee437d1, v71, -v189
	v_fma_f32 v134, 0x3dbcf732, v91, -v163
	v_add_f32_e32 v131, v132, v131
	s_delay_alu instid0(VALU_DEP_4) | instskip(SKIP_4) | instid1(VALU_DEP_4)
	v_add_f32_e32 v43, v197, v179
	v_dual_mul_f32 v197, 0xbe3c28d5, v42 :: v_dual_add_f32 v42, v203, v201
	v_fmamk_f32 v201, v88, 0x3f06c442, v204
	v_mul_f32_e32 v203, 0x3f3d2fb0, v116
	v_mul_f32_e32 v179, 0xbf763a35, v147
	v_fmamk_f32 v206, v69, 0xbf7ba420, v197
	v_fmac_f32_e32 v200, 0x3f2c7751, v98
	v_add_f32_e32 v42, v201, v42
	v_fmamk_f32 v44, v89, 0xbf2c7751, v203
	s_delay_alu instid0(VALU_DEP_4) | instskip(SKIP_1) | instid1(VALU_DEP_3)
	v_dual_mul_f32 v201, 0xbf1a4643, v123 :: v_dual_add_f32 v206, v206, v0
	v_fmac_f32_e32 v203, 0x3f2c7751, v89
	v_dual_fmamk_f32 v205, v97, 0xbe8c1d8e, v179 :: v_dual_add_f32 v42, v44, v42
	s_delay_alu instid0(VALU_DEP_3) | instskip(SKIP_3) | instid1(VALU_DEP_4)
	v_dual_fmamk_f32 v44, v93, 0x3f4c4adb, v201 :: v_dual_add_f32 v45, v208, v206
	v_fmamk_f32 v206, v80, 0xbf59a7d5, v209
	v_fmac_f32_e32 v204, 0xbf06c442, v88
	v_mul_f32_e32 v208, 0xbe8c1d8e, v127
	v_add_f32_e32 v42, v44, v42
	s_delay_alu instid0(VALU_DEP_4) | instskip(SKIP_1) | instid1(VALU_DEP_4)
	v_dual_fmamk_f32 v44, v96, 0xbf65296c, v210 :: v_dual_add_f32 v45, v206, v45
	v_fmamk_f32 v206, v82, 0x3f3d2fb0, v148
	v_fmamk_f32 v211, v98, 0x3f763a35, v208
	s_delay_alu instid0(VALU_DEP_3)
	v_dual_mul_f32 v147, 0x3f7ee86f, v147 :: v_dual_add_f32 v44, v44, v42
	v_add_f32_e32 v42, v205, v198
	v_mul_f32_e32 v205, 0x3f65296c, v146
	v_fma_f32 v146, 0xbf59a7d5, v69, -v186
	v_add_f32_e32 v45, v206, v45
	v_fmamk_f32 v198, v86, 0xbf1a4643, v149
	v_fmac_f32_e32 v188, 0xbf763a35, v99
	v_fmamk_f32 v186, v91, 0x3ee437d1, v205
	v_dual_add_f32 v146, v146, v0 :: v_dual_fmac_f32 v185, 0x3f4c4adb, v89
	s_delay_alu instid0(VALU_DEP_4) | instskip(SKIP_1) | instid1(VALU_DEP_3)
	v_add_f32_e32 v45, v198, v45
	v_dual_mul_f32 v198, 0xbf763a35, v145 :: v_dual_add_f32 v145, v180, v175
	v_add_f32_e32 v146, v189, v146
	v_fma_f32 v175, 0x3dbcf732, v80, -v192
	s_delay_alu instid0(VALU_DEP_4) | instskip(SKIP_2) | instid1(VALU_DEP_4)
	v_add_f32_e32 v45, v186, v45
	v_fmac_f32_e32 v201, 0xbf4c4adb, v93
	v_dual_fmamk_f32 v180, v94, 0xbe8c1d8e, v198 :: v_dual_add_f32 v145, v183, v145
	v_dual_mul_f32 v183, 0x3dbcf732, v128 :: v_dual_add_f32 v146, v175, v146
	v_fma_f32 v175, 0xbf1a4643, v82, -v194
	v_add_f32_e32 v44, v211, v44
	s_delay_alu instid0(VALU_DEP_4)
	v_add_f32_e32 v180, v180, v45
	v_add_f32_e32 v45, v185, v145
	v_fmamk_f32 v145, v99, 0xbf7ee86f, v183
	v_add_f32_e32 v146, v175, v146
	v_fma_f32 v175, 0x3f6eb680, v86, -v191
	v_fma_f32 v182, 0x3f3d2fb0, v94, -v182
	v_add_f32_e32 v185, v190, v45
	v_add_f32_e32 v45, v145, v44
	v_fma_f32 v145, 0xbf7ba420, v91, -v199
	v_add_f32_e32 v44, v175, v146
	s_delay_alu instid0(VALU_DEP_4) | instskip(SKIP_2) | instid1(VALU_DEP_4)
	v_dual_fmamk_f32 v146, v97, 0x3dbcf732, v147 :: v_dual_add_f32 v175, v195, v185
	v_fma_f32 v179, 0xbe8c1d8e, v97, -v179
	v_fma_f32 v185, 0x3f6eb680, v71, -v207
	v_add_f32_e32 v145, v145, v44
	s_delay_alu instid0(VALU_DEP_4)
	v_add_f32_e32 v44, v146, v180
	v_fma_f32 v180, 0xbf7ba420, v69, -v197
	v_fma_f32 v149, 0xbf1a4643, v86, -v149
	v_add_f32_e32 v146, v196, v1
	v_add_f32_e32 v145, v182, v145
	v_fma_f32 v148, 0x3f3d2fb0, v82, -v148
	v_add_f32_e32 v180, v180, v0
	v_dual_fmac_f32 v202, 0x3eb8f4ab, v84 :: v_dual_add_f32 v175, v200, v175
	s_delay_alu instid0(VALU_DEP_4) | instskip(SKIP_1) | instid1(VALU_DEP_4)
	v_add_f32_e32 v145, v179, v145
	v_mul_f32_e32 v189, 0x3dbcf732, v115
	v_add_f32_e32 v179, v185, v180
	v_fma_f32 v180, 0xbf59a7d5, v80, -v209
	v_add_f32_e32 v182, v202, v146
	v_mul_f32_e32 v186, 0x3f3d2fb0, v103
	v_mul_f32_e32 v191, 0x3ee437d1, v112
	;; [unrolled: 1-line block ×3, first 2 shown]
	v_dual_add_f32 v179, v180, v179 :: v_dual_fmac_f32 v170, 0x3f7ee86f, v93
	v_fmac_f32_e32 v183, 0x3f7ee86f, v99
	v_fmac_f32_e32 v169, 0xbf06c442, v89
	v_mul_f32_e32 v192, 0xbe8c1d8e, v126
	s_delay_alu instid0(VALU_DEP_4) | instskip(SKIP_1) | instid1(VALU_DEP_4)
	v_add_f32_e32 v148, v148, v179
	v_dual_mul_f32 v179, 0x3f3d2fb0, v115 :: v_dual_mul_f32 v180, 0x3f3d2fb0, v69
	v_add_f32_e32 v166, v169, v166
	s_delay_alu instid0(VALU_DEP_3) | instskip(SKIP_2) | instid1(VALU_DEP_2)
	v_dual_mul_f32 v169, 0xbf59a7d5, v86 :: v_dual_add_f32 v148, v149, v148
	v_fma_f32 v149, 0x3ee437d1, v91, -v205
	v_fma_f32 v147, 0x3dbcf732, v97, -v147
	v_add_f32_e32 v115, v149, v148
	v_fma_f32 v149, 0xbe8c1d8e, v94, -v198
	v_add_f32_e32 v146, v188, v175
	v_mul_f32_e32 v188, 0x3dbcf732, v71
	v_mul_f32_e32 v148, 0xbf1a4643, v80
	v_fmac_f32_e32 v100, 0xbf06c442, v99
	v_add_f32_e32 v149, v149, v115
	v_add_f32_e32 v175, v204, v182
	v_sub_f32_e32 v65, v188, v65
	v_add_f32_e32 v115, v172, v0
	v_fma_f32 v172, 0xbe8c1d8e, v71, -v174
	s_delay_alu instid0(VALU_DEP_4) | instskip(SKIP_1) | instid1(VALU_DEP_3)
	v_dual_fmac_f32 v210, 0x3f65296c, v96 :: v_dual_add_f32 v175, v203, v175
	v_dual_mul_f32 v182, 0x3f6eb680, v69 :: v_dual_add_f32 v67, v67, v186
	v_dual_add_f32 v115, v172, v115 :: v_dual_fmac_f32 v208, 0xbf763a35, v98
	s_delay_alu instid0(VALU_DEP_3) | instskip(SKIP_1) | instid1(VALU_DEP_3)
	v_add_f32_e32 v103, v201, v175
	v_mul_f32_e32 v175, 0x3f3d2fb0, v71
	v_dual_mul_f32 v174, 0x3dbcf732, v82 :: v_dual_add_f32 v115, v177, v115
	s_delay_alu instid0(VALU_DEP_3) | instskip(SKIP_2) | instid1(VALU_DEP_4)
	v_dual_mul_f32 v190, 0x3ee437d1, v80 :: v_dual_add_f32 v103, v210, v103
	v_mul_f32_e32 v177, 0xbe8c1d8e, v123
	v_mul_f32_e32 v123, 0xbf59a7d5, v123
	v_add_f32_e32 v115, v176, v115
	v_fma_f32 v176, 0x3dbcf732, v86, -v181
	v_dual_add_f32 v103, v208, v103 :: v_dual_mul_f32 v112, 0xbf1a4643, v112
	v_add_f32_e32 v166, v170, v166
	s_delay_alu instid0(VALU_DEP_3) | instskip(NEXT) | instid1(VALU_DEP_3)
	v_dual_mul_f32 v170, 0xbf1a4643, v126 :: v_dual_add_f32 v115, v176, v115
	v_add_f32_e32 v103, v183, v103
	v_fma_f32 v126, 0x3f3d2fb0, v91, -v184
	v_mul_f32_e32 v184, 0xbf59a7d5, v127
	v_dual_fmac_f32 v102, 0xbeb8f4ab, v96 :: v_dual_add_f32 v67, v67, v1
	v_mul_f32_e32 v181, 0xbf1a4643, v91
	s_delay_alu instid0(VALU_DEP_4) | instskip(SKIP_3) | instid1(VALU_DEP_4)
	v_dual_add_f32 v115, v126, v115 :: v_dual_add_f32 v126, v157, v156
	v_fmac_f32_e32 v171, 0xbf2c7751, v96
	v_fma_f32 v157, 0xbf7ba420, v94, -v187
	v_mul_f32_e32 v172, 0xbf7ba420, v82
	v_dual_mul_f32 v187, 0x3ee437d1, v127 :: v_dual_add_f32 v126, v155, v126
	s_delay_alu instid0(VALU_DEP_3) | instskip(SKIP_2) | instid1(VALU_DEP_4)
	v_dual_add_f32 v166, v171, v166 :: v_dual_add_f32 v157, v157, v115
	v_fma_f32 v115, 0xbe8c1d8e, v69, -v158
	v_mul_f32_e32 v116, 0xbf7ba420, v116
	v_add_f32_e32 v126, v153, v126
	s_delay_alu instid0(VALU_DEP_4) | instskip(SKIP_2) | instid1(VALU_DEP_4)
	v_add_f32_e32 v127, v173, v166
	v_mul_f32_e32 v171, 0xbf59a7d5, v94
	v_dual_mul_f32 v166, 0xbf7ba420, v97 :: v_dual_mul_f32 v173, 0xbf7ba420, v128
	v_add_f32_e32 v126, v150, v126
	v_fma_f32 v150, 0xbf7ba420, v86, -v162
	v_add_f32_e32 v158, v115, v0
	v_mul_f32_e32 v176, 0xbe8c1d8e, v91
	s_delay_alu instid0(VALU_DEP_4) | instskip(SKIP_1) | instid1(VALU_DEP_4)
	v_dual_add_f32 v115, v178, v127 :: v_dual_add_f32 v126, v151, v126
	v_dual_mul_f32 v155, 0x3f6eb680, v97 :: v_dual_mul_f32 v128, 0x3f6eb680, v128
	v_add_f32_e32 v127, v159, v158
	v_fma_f32 v158, 0x3f3d2fb0, v80, -v160
	v_fma_f32 v153, 0x3ee437d1, v97, -v193
	s_delay_alu instid0(VALU_DEP_2) | instskip(SKIP_3) | instid1(VALU_DEP_3)
	v_add_f32_e32 v127, v158, v127
	v_fma_f32 v158, 0x3ee437d1, v82, -v161
	v_mul_f32_e32 v156, 0x3ee437d1, v94
	v_add_f32_e32 v76, v76, v189
	v_dual_fmac_f32 v104, 0x3f2c7751, v93 :: v_dual_add_f32 v127, v158, v127
	s_delay_alu instid0(VALU_DEP_2) | instskip(NEXT) | instid1(VALU_DEP_2)
	v_add_f32_e32 v67, v76, v67
	v_add_f32_e32 v127, v150, v127
	s_delay_alu instid0(VALU_DEP_1) | instskip(NEXT) | instid1(VALU_DEP_1)
	v_dual_fmac_f32 v133, 0x3eb8f4ab, v89 :: v_dual_add_f32 v132, v134, v127
	v_dual_fmac_f32 v152, 0xbeb8f4ab, v98 :: v_dual_add_f32 v131, v133, v131
	v_fma_f32 v134, 0x3f6eb680, v94, -v164
	v_fma_f32 v133, 0xbf1a4643, v97, -v165
	s_delay_alu instid0(VALU_DEP_3) | instskip(NEXT) | instid1(VALU_DEP_3)
	v_dual_add_f32 v126, v152, v126 :: v_dual_add_f32 v131, v135, v131
	v_add_f32_e32 v132, v134, v132
	s_delay_alu instid0(VALU_DEP_2)
	v_add_f32_e32 v127, v154, v126
	v_fma_f32 v126, 0x3dbcf732, v69, -v141
	v_fma_f32 v141, 0xbf7ba420, v71, -v142
	v_fmac_f32_e32 v129, 0xbf06c442, v96
	v_fma_f32 v69, 0x3ee437d1, v69, -v120
	v_fma_f32 v71, 0xbf1a4643, v71, -v118
	s_delay_alu instid0(VALU_DEP_3) | instskip(NEXT) | instid1(VALU_DEP_3)
	v_dual_add_f32 v134, v126, v0 :: v_dual_add_f32 v129, v129, v131
	v_add_f32_e32 v69, v69, v0
	v_fmac_f32_e32 v106, 0x3e3c28d5, v88
	s_delay_alu instid0(VALU_DEP_3)
	v_dual_add_f32 v78, v141, v134 :: v_dual_fmac_f32 v119, 0xbf4c4adb, v84
	v_fmac_f32_e32 v130, 0x3f4c4adb, v98
	v_fma_f32 v84, 0x3f6eb680, v82, -v143
	v_fma_f32 v88, 0x3ee437d1, v86, -v144
	v_add_f32_e32 v69, v71, v69
	v_dual_add_f32 v119, v119, v121 :: v_dual_add_f32 v126, v133, v132
	v_add_f32_e32 v129, v130, v129
	v_fma_f32 v132, 0xbe8c1d8e, v80, -v138
	v_fma_f32 v71, 0xbf7ba420, v80, -v117
	s_delay_alu instid0(VALU_DEP_4) | instskip(NEXT) | instid1(VALU_DEP_2)
	v_add_f32_e32 v106, v106, v119
	v_dual_add_f32 v78, v132, v78 :: v_dual_add_f32 v69, v71, v69
	s_delay_alu instid0(VALU_DEP_2) | instskip(SKIP_2) | instid1(VALU_DEP_4)
	v_add_f32_e32 v89, v105, v106
	v_fma_f32 v71, 0xbe8c1d8e, v82, -v114
	v_fma_f32 v82, 0x3f3d2fb0, v97, -v137
	v_add_f32_e32 v84, v84, v78
	v_add_f32_e32 v78, v136, v129
	;; [unrolled: 1-line block ×4, first 2 shown]
	v_fma_f32 v71, 0x3f3d2fb0, v86, -v113
	v_add_f32_e32 v84, v88, v84
	v_fma_f32 v88, 0xbf59a7d5, v91, -v139
	v_add_f32_e32 v80, v102, v80
	v_add_f32_e32 v102, v147, v149
	;; [unrolled: 1-line block ×3, first 2 shown]
	v_fma_f32 v71, 0x3f6eb680, v91, -v125
	v_add_f32_e32 v84, v88, v84
	v_fma_f32 v88, 0xbf1a4643, v94, -v140
	v_add_f32_e32 v76, v81, v112
	v_add_f32_e32 v81, v90, v192
	;; [unrolled: 1-line block ×3, first 2 shown]
	v_fma_f32 v71, 0x3dbcf732, v94, -v122
	v_add_f32_e32 v84, v88, v84
	v_sub_f32_e32 v58, v180, v58
	v_dual_add_f32 v80, v101, v80 :: v_dual_add_f32 v67, v76, v67
	v_add_f32_e32 v76, v83, v116
	s_delay_alu instid0(VALU_DEP_3) | instskip(SKIP_2) | instid1(VALU_DEP_3)
	v_dual_add_f32 v69, v71, v69 :: v_dual_add_f32 v58, v58, v0
	v_fma_f32 v71, 0xbf59a7d5, v97, -v124
	v_add_f32_e32 v114, v153, v157
	v_dual_add_f32 v58, v65, v58 :: v_dual_sub_f32 v65, v148, v75
	v_add_f32_e32 v67, v76, v67
	v_add_f32_e32 v76, v87, v123
	;; [unrolled: 1-line block ×3, first 2 shown]
	s_delay_alu instid0(VALU_DEP_4) | instskip(SKIP_1) | instid1(VALU_DEP_1)
	v_dual_add_f32 v69, v95, v187 :: v_dual_add_f32 v58, v65, v58
	v_sub_f32_e32 v65, v172, v79
	v_dual_add_f32 v3, v3, v1 :: v_dual_add_f32 v58, v65, v58
	v_sub_f32_e32 v65, v169, v68
	v_add_f32_e32 v67, v76, v67
	s_delay_alu instid0(VALU_DEP_3) | instskip(SKIP_1) | instid1(VALU_DEP_3)
	v_dual_add_f32 v76, v100, v80 :: v_dual_add_f32 v3, v17, v3
	v_add_f32_e32 v16, v85, v128
	v_add_f32_e32 v67, v81, v67
	s_delay_alu instid0(VALU_DEP_3) | instskip(SKIP_2) | instid1(VALU_DEP_4)
	v_add_f32_e32 v3, v19, v3
	v_sub_f32_e32 v19, v156, v77
	v_add_f32_e32 v77, v82, v84
	v_add_f32_e32 v67, v69, v67
	v_dual_add_f32 v17, v65, v58 :: v_dual_sub_f32 v58, v176, v73
	v_add_f32_e32 v3, v29, v3
	s_delay_alu instid0(VALU_DEP_3) | instskip(SKIP_1) | instid1(VALU_DEP_4)
	v_add_f32_e32 v2, v16, v67
	v_add_f32_e32 v16, v47, v185
	;; [unrolled: 1-line block ×3, first 2 shown]
	s_delay_alu instid0(VALU_DEP_4) | instskip(NEXT) | instid1(VALU_DEP_3)
	v_add_f32_e32 v3, v31, v3
	v_dual_add_f32 v1, v16, v1 :: v_dual_add_f32 v16, v49, v179
	s_delay_alu instid0(VALU_DEP_1) | instskip(NEXT) | instid1(VALU_DEP_4)
	v_add_f32_e32 v1, v16, v1
	v_dual_add_f32 v16, v24, v18 :: v_dual_add_f32 v17, v19, v17
	v_dual_sub_f32 v19, v182, v46 :: v_dual_add_f32 v18, v51, v191
	s_delay_alu instid0(VALU_DEP_2) | instskip(NEXT) | instid1(VALU_DEP_2)
	v_add_f32_e32 v16, v26, v16
	v_add_f32_e32 v0, v19, v0
	v_sub_f32_e32 v19, v175, v48
	s_delay_alu instid0(VALU_DEP_4) | instskip(NEXT) | instid1(VALU_DEP_4)
	v_dual_add_f32 v1, v18, v1 :: v_dual_add_f32 v18, v53, v167
	v_dual_add_f32 v3, v25, v3 :: v_dual_add_f32 v16, v20, v16
	s_delay_alu instid0(VALU_DEP_3) | instskip(NEXT) | instid1(VALU_DEP_2)
	v_add_f32_e32 v0, v19, v0
	v_dual_add_f32 v3, v27, v3 :: v_dual_add_f32 v16, v22, v16
	v_sub_f32_e32 v19, v190, v50
	s_delay_alu instid0(VALU_DEP_2) | instskip(NEXT) | instid1(VALU_DEP_2)
	v_dual_add_f32 v3, v21, v3 :: v_dual_add_f32 v12, v12, v16
	v_add_f32_e32 v0, v19, v0
	v_dual_sub_f32 v19, v174, v52 :: v_dual_sub_f32 v16, v168, v54
	s_delay_alu instid0(VALU_DEP_3) | instskip(NEXT) | instid1(VALU_DEP_1)
	v_add_f32_e32 v12, v14, v12
	v_add_f32_e32 v8, v8, v12
	v_dual_sub_f32 v12, v155, v74 :: v_dual_add_f32 v1, v18, v1
	s_delay_alu instid0(VALU_DEP_4) | instskip(SKIP_1) | instid1(VALU_DEP_4)
	v_add_f32_e32 v0, v19, v0
	v_add_f32_e32 v18, v55, v177
	v_dual_add_f32 v3, v23, v3 :: v_dual_add_f32 v8, v10, v8
	v_add_f32_e32 v10, v70, v173
	s_delay_alu instid0(VALU_DEP_3) | instskip(NEXT) | instid1(VALU_DEP_3)
	v_dual_add_f32 v0, v16, v0 :: v_dual_add_f32 v1, v18, v1
	v_add_f32_e32 v3, v13, v3
	s_delay_alu instid0(VALU_DEP_4) | instskip(NEXT) | instid1(VALU_DEP_2)
	v_dual_add_f32 v13, v57, v170 :: v_dual_add_f32 v4, v4, v8
	v_dual_sub_f32 v8, v166, v66 :: v_dual_add_f32 v3, v15, v3
	s_delay_alu instid0(VALU_DEP_2) | instskip(SKIP_1) | instid1(VALU_DEP_3)
	v_add_f32_e32 v1, v13, v1
	v_add_f32_e32 v13, v64, v184
	;; [unrolled: 1-line block ×3, first 2 shown]
	v_sub_f32_e32 v9, v181, v56
	s_delay_alu instid0(VALU_DEP_3) | instskip(NEXT) | instid1(VALU_DEP_2)
	v_add_f32_e32 v1, v13, v1
	v_dual_add_f32 v0, v9, v0 :: v_dual_sub_f32 v9, v171, v59
	s_delay_alu instid0(VALU_DEP_1) | instskip(NEXT) | instid1(VALU_DEP_1)
	v_dual_add_f32 v3, v11, v3 :: v_dual_add_f32 v0, v9, v0
	v_add_f32_e32 v3, v5, v3
	v_mul_lo_u16 v5, v110, 17
	s_delay_alu instid0(VALU_DEP_2) | instskip(SKIP_1) | instid1(VALU_DEP_3)
	v_add_f32_e32 v7, v7, v3
	v_add_f32_e32 v9, v6, v4
	v_and_b32_e32 v11, 0xffff, v5
	v_dual_add_f32 v4, v10, v1 :: v_dual_add_f32 v3, v8, v0
	s_delay_alu instid0(VALU_DEP_3) | instskip(NEXT) | instid1(VALU_DEP_3)
	v_dual_add_f32 v6, v33, v7 :: v_dual_add_f32 v5, v32, v9
	v_add_lshl_u32 v0, v72, v11, 3
	v_add_f32_e32 v1, v12, v17
	ds_store_2addr_b64 v0, v[5:6], v[3:4] offset1:1
	ds_store_2addr_b64 v0, v[1:2], v[75:76] offset0:2 offset1:3
	ds_store_2addr_b64 v0, v[77:78], v[126:127] offset0:4 offset1:5
	ds_store_2addr_b64 v0, v[114:115], v[145:146] offset0:6 offset1:7
	ds_store_2addr_b64 v0, v[102:103], v[44:45] offset0:8 offset1:9
	ds_store_2addr_b64 v0, v[42:43], v[40:41] offset0:10 offset1:11
	ds_store_2addr_b64 v0, v[38:39], v[36:37] offset0:12 offset1:13
	ds_store_2addr_b64 v0, v[34:35], v[60:61] offset0:14 offset1:15
	ds_store_b64 v0, v[62:63] offset:128
.LBB0_7:
	s_wait_alu 0xfffe
	s_or_b32 exec_lo, exec_lo, s0
	v_add_lshl_u32 v112, v72, v110, 3
	global_wb scope:SCOPE_SE
	s_wait_dscnt 0x0
	s_barrier_signal -1
	s_barrier_wait -1
	global_inv scope:SCOPE_SE
	v_add_nc_u32_e32 v0, 0x400, v112
	v_add_nc_u32_e32 v1, 0x1000, v112
	;; [unrolled: 1-line block ×5, first 2 shown]
	ds_load_2addr_b64 v[32:35], v0 offset0:42 offset1:144
	v_add_nc_u32_e32 v0, 0x800, v112
	ds_load_2addr_b64 v[36:39], v112 offset1:85
	ds_load_2addr_b64 v[56:59], v1 offset0:32 offset1:117
	ds_load_2addr_b64 v[40:43], v2 offset0:74 offset1:176
	;; [unrolled: 1-line block ×5, first 2 shown]
	ds_load_b64 v[70:71], v112 offset:10064
	v_cmp_gt_u16_e64 s0, 17, v110
                                        ; implicit-def: $vgpr64
                                        ; implicit-def: $vgpr66
                                        ; implicit-def: $vgpr68
	s_delay_alu instid0(VALU_DEP_1)
	s_and_saveexec_b32 s1, s0
	s_cbranch_execz .LBB0_9
; %bb.8:
	ds_load_b64 v[60:61], v112 offset:2040
	ds_load_b64 v[62:63], v112 offset:4216
	;; [unrolled: 1-line block ×5, first 2 shown]
.LBB0_9:
	s_wait_alu 0xfffe
	s_or_b32 exec_lo, exec_lo, s1
	v_and_b32_e32 v0, 0xff, v110
	v_add_nc_u16 v3, v110, 0xaa
	s_delay_alu instid0(VALU_DEP_2) | instskip(NEXT) | instid1(VALU_DEP_1)
	v_mul_lo_u16 v0, 0xf1, v0
	v_lshrrev_b16 v74, 12, v0
	v_add_nc_u16 v0, v110, 0x55
	s_delay_alu instid0(VALU_DEP_2) | instskip(NEXT) | instid1(VALU_DEP_2)
	v_mul_lo_u16 v1, v74, 17
	v_and_b32_e32 v2, 0xff, v0
	v_and_b32_e32 v74, 0xffff, v74
	s_delay_alu instid0(VALU_DEP_3) | instskip(NEXT) | instid1(VALU_DEP_3)
	v_sub_nc_u16 v1, v110, v1
	v_mul_lo_u16 v2, 0xf1, v2
	s_delay_alu instid0(VALU_DEP_3) | instskip(NEXT) | instid1(VALU_DEP_3)
	v_mul_u32_u24_e32 v74, 0x55, v74
	v_and_b32_e32 v75, 0xff, v1
	s_delay_alu instid0(VALU_DEP_3) | instskip(NEXT) | instid1(VALU_DEP_2)
	v_lshrrev_b16 v76, 12, v2
	v_lshlrev_b32_e32 v2, 5, v75
	s_delay_alu instid0(VALU_DEP_4)
	v_add_nc_u32_e32 v74, v74, v75
	s_clause 0x1
	global_load_b128 v[24:27], v2, s[2:3]
	global_load_b128 v[12:15], v2, s[2:3] offset:16
	v_and_b32_e32 v4, 0xff, v3
	v_add_lshl_u32 v116, v72, v74, 3
	s_delay_alu instid0(VALU_DEP_2) | instskip(SKIP_2) | instid1(VALU_DEP_3)
	v_mul_lo_u16 v1, 0xf1, v4
	v_mul_lo_u16 v4, v76, 17
	v_and_b32_e32 v76, 0xffff, v76
	v_lshrrev_b16 v77, 12, v1
	s_delay_alu instid0(VALU_DEP_3) | instskip(NEXT) | instid1(VALU_DEP_3)
	v_sub_nc_u16 v0, v0, v4
	v_mul_u32_u24_e32 v76, 0x55, v76
	v_add_nc_u32_e32 v1, 0xff, v110
	s_delay_alu instid0(VALU_DEP_4) | instskip(NEXT) | instid1(VALU_DEP_4)
	v_mul_lo_u16 v2, v77, 17
	v_and_b32_e32 v78, 0xff, v0
	s_delay_alu instid0(VALU_DEP_2) | instskip(SKIP_1) | instid1(VALU_DEP_1)
	v_sub_nc_u16 v2, v3, v2
	s_wait_loadcnt_dscnt 0x107
	v_dual_mul_f32 v74, v35, v25 :: v_dual_and_b32 v79, 0xff, v2
	s_wait_loadcnt_dscnt 0x3
	v_mul_f32_e32 v80, v53, v15
	v_mul_f32_e32 v81, v52, v15
	v_lshlrev_b32_e32 v3, 5, v78
	v_dual_mul_f32 v78, v43, v13 :: v_dual_add_nc_u32 v75, v76, v78
	v_lshlrev_b32_e32 v2, 5, v79
	v_fma_f32 v74, v34, v24, -v74
	s_clause 0x1
	global_load_b128 v[28:31], v3, s[2:3]
	global_load_b128 v[20:23], v3, s[2:3] offset:16
	v_and_b32_e32 v77, 0xffff, v77
	v_add_lshl_u32 v115, v72, v75, 3
	v_mul_f32_e32 v75, v34, v25
	v_fmac_f32_e32 v81, v53, v14
	s_delay_alu instid0(VALU_DEP_4) | instskip(NEXT) | instid1(VALU_DEP_1)
	v_mul_u32_u24_e32 v77, 0x55, v77
	v_dual_fmac_f32 v75, v35, v24 :: v_dual_add_nc_u32 v76, v77, v79
	v_dual_mul_f32 v77, v56, v27 :: v_dual_and_b32 v0, 0xffff, v1
	v_mul_f32_e32 v79, v42, v13
	s_delay_alu instid0(VALU_DEP_3) | instskip(NEXT) | instid1(VALU_DEP_3)
	v_add_f32_e32 v99, v75, v81
	v_fmac_f32_e32 v77, v57, v26
	s_delay_alu instid0(VALU_DEP_4) | instskip(NEXT) | instid1(VALU_DEP_4)
	v_mul_u32_u24_e32 v0, 0xf0f1, v0
	v_fmac_f32_e32 v79, v43, v12
	s_clause 0x1
	global_load_b128 v[16:19], v2, s[2:3]
	global_load_b128 v[8:11], v2, s[2:3] offset:16
	v_dual_add_f32 v94, v37, v75 :: v_dual_sub_f32 v97, v75, v77
	v_lshrrev_b32_e32 v0, 20, v0
	v_add_f32_e32 v95, v77, v79
	s_delay_alu instid0(VALU_DEP_2) | instskip(NEXT) | instid1(VALU_DEP_1)
	v_mul_lo_u16 v0, v0, 17
	v_sub_nc_u16 v73, v1, v0
	s_delay_alu instid0(VALU_DEP_1) | instskip(NEXT) | instid1(VALU_DEP_1)
	v_lshlrev_b16 v0, 2, v73
	v_and_b32_e32 v0, 0xffff, v0
	s_wait_loadcnt 0x3
	s_delay_alu instid0(VALU_DEP_1)
	v_dual_mul_f32 v35, v59, v31 :: v_dual_lshlrev_b32 v0, 3, v0
	s_clause 0x1
	global_load_b128 v[4:7], v0, s[2:3]
	global_load_b128 v[0:3], v0, s[2:3] offset:16
	s_wait_dscnt 0x2
	v_dual_mul_f32 v34, v49, v29 :: v_dual_mul_f32 v53, v58, v31
	s_wait_loadcnt 0x4
	v_mul_f32_e32 v43, v55, v23
	v_fma_f32 v58, v58, v30, -v35
	s_load_b128 s[4:7], s[4:5], 0x0
	global_wb scope:SCOPE_SE
	s_wait_loadcnt_dscnt 0x0
	v_fmac_f32_e32 v53, v59, v30
	v_fma_f32 v90, v54, v22, -v43
	s_wait_kmcnt 0x0
	s_barrier_signal -1
	s_barrier_wait -1
	global_inv scope:SCOPE_SE
	v_mul_f32_e32 v83, v50, v17
	v_add_lshl_u32 v114, v72, v76, 3
	v_mul_f32_e32 v76, v57, v27
	v_fma_f32 v57, v42, v12, -v78
	s_delay_alu instid0(VALU_DEP_4) | instskip(SKIP_1) | instid1(VALU_DEP_4)
	v_dual_mul_f32 v78, v44, v21 :: v_dual_fmac_f32 v83, v51, v16
	v_dual_mul_f32 v42, v45, v21 :: v_dual_mul_f32 v85, v40, v19
	v_fma_f32 v56, v56, v26, -v76
	v_fma_f32 v76, v52, v14, -v80
	v_dual_mul_f32 v52, v48, v29 :: v_dual_mul_f32 v89, v70, v11
	v_mul_f32_e32 v80, v54, v23
	v_dual_mul_f32 v82, v51, v17 :: v_dual_fmac_f32 v85, v41, v18
	v_dual_mul_f32 v84, v41, v19 :: v_dual_mul_f32 v87, v46, v9
	v_mul_f32_e32 v86, v47, v9
	v_mul_f32_e32 v88, v71, v11
	v_fmac_f32_e32 v78, v45, v20
	v_fma_f32 v48, v48, v28, -v34
	v_dual_fmac_f32 v52, v49, v28 :: v_dual_fmac_f32 v89, v71, v10
	v_fma_f32 v59, v44, v20, -v42
	v_fmac_f32_e32 v80, v55, v22
	v_fma_f32 v49, v50, v16, -v82
	v_fma_f32 v54, v40, v18, -v84
	v_dual_fmac_f32 v87, v47, v8 :: v_dual_add_f32 v50, v36, v74
	v_add_f32_e32 v51, v56, v57
	v_sub_f32_e32 v55, v74, v56
	v_sub_f32_e32 v91, v56, v74
	;; [unrolled: 1-line block ×6, first 2 shown]
	v_add_f32_e32 v125, v83, v89
	v_sub_f32_e32 v103, v83, v89
	v_mul_f32_e32 v42, v63, v5
	v_mul_f32_e32 v35, v66, v1
	;; [unrolled: 1-line block ×3, first 2 shown]
	v_fma_f32 v84, v70, v10, -v88
	v_mul_f32_e32 v43, v65, v7
	v_fma_f32 v82, v46, v8, -v86
	v_mul_f32_e32 v40, v64, v7
	v_dual_mul_f32 v46, v67, v1 :: v_dual_mul_f32 v47, v69, v3
	v_mul_f32_e32 v34, v68, v3
	v_sub_f32_e32 v70, v75, v81
	v_dual_sub_f32 v86, v76, v57 :: v_dual_sub_f32 v75, v77, v75
	v_add_f32_e32 v88, v74, v76
	v_sub_f32_e32 v74, v74, v76
	v_dual_sub_f32 v98, v81, v79 :: v_dual_fmac_f32 v35, v67, v0
	v_sub_f32_e32 v100, v79, v81
	v_dual_sub_f32 v96, v56, v57 :: v_dual_fmac_f32 v41, v63, v4
	v_fma_f32 v44, v62, v4, -v42
	v_fma_f32 v45, v64, v6, -v43
	v_dual_fmac_f32 v40, v65, v6 :: v_dual_add_f32 v63, v91, v93
	v_fma_f32 v43, v66, v0, -v46
	v_fma_f32 v42, v68, v2, -v47
	v_fmac_f32_e32 v34, v69, v2
	v_dual_add_f32 v50, v50, v56 :: v_dual_add_f32 v91, v53, v78
	v_fma_f32 v46, -0.5, v51, v36
	v_dual_add_f32 v62, v55, v86 :: v_dual_add_f32 v55, v38, v48
	v_fma_f32 v36, -0.5, v88, v36
	v_add_f32_e32 v51, v94, v77
	v_fma_f32 v47, -0.5, v95, v37
	v_add_f32_e32 v77, v97, v98
	v_fma_f32 v37, -0.5, v99, v37
	v_dual_add_f32 v75, v75, v100 :: v_dual_add_f32 v56, v58, v59
	v_dual_sub_f32 v86, v52, v80 :: v_dual_sub_f32 v65, v90, v59
	v_dual_sub_f32 v88, v53, v78 :: v_dual_sub_f32 v67, v58, v48
	v_dual_sub_f32 v64, v48, v58 :: v_dual_add_f32 v69, v39, v52
	v_dual_add_f32 v66, v48, v90 :: v_dual_sub_f32 v99, v53, v52
	v_dual_sub_f32 v68, v59, v90 :: v_dual_sub_f32 v95, v52, v53
	v_dual_sub_f32 v97, v80, v78 :: v_dual_sub_f32 v100, v78, v80
	v_add_f32_e32 v98, v52, v80
	v_dual_add_f32 v101, v32, v49 :: v_dual_add_f32 v102, v54, v82
	v_sub_f32_e32 v104, v85, v87
	v_dual_sub_f32 v105, v49, v54 :: v_dual_sub_f32 v118, v82, v84
	v_dual_add_f32 v119, v33, v83 :: v_dual_sub_f32 v122, v54, v82
	v_add_f32_e32 v120, v85, v87
	v_dual_sub_f32 v124, v89, v87 :: v_dual_sub_f32 v93, v48, v90
	v_sub_f32_e32 v94, v58, v59
	v_dual_sub_f32 v106, v84, v82 :: v_dual_add_f32 v113, v49, v84
	v_dual_sub_f32 v121, v49, v84 :: v_dual_sub_f32 v126, v87, v89
	v_dual_sub_f32 v83, v85, v83 :: v_dual_fmamk_f32 v48, v70, 0x3f737871, v46
	v_dual_add_f32 v57, v50, v57 :: v_dual_fmac_f32 v46, 0xbf737871, v70
	v_dual_fmamk_f32 v50, v71, 0xbf737871, v36 :: v_dual_fmamk_f32 v49, v74, 0xbf737871, v47
	v_dual_fmac_f32 v36, 0x3f737871, v71 :: v_dual_fmac_f32 v47, 0x3f737871, v74
	v_add_f32_e32 v79, v51, v79
	v_dual_fmamk_f32 v51, v96, 0x3f737871, v37 :: v_dual_add_f32 v58, v55, v58
	v_fmac_f32_e32 v37, 0xbf737871, v96
	v_fma_f32 v52, -0.5, v56, v38
	v_dual_add_f32 v127, v64, v65 :: v_dual_add_f32 v128, v67, v68
	v_fma_f32 v38, -0.5, v66, v38
	v_add_f32_e32 v65, v69, v53
	v_fma_f32 v53, -0.5, v91, v39
	v_add_f32_e32 v91, v95, v97
	v_fmac_f32_e32 v39, -0.5, v98
	v_dual_add_f32 v129, v99, v100 :: v_dual_add_f32 v66, v101, v54
	v_fma_f32 v54, -0.5, v102, v32
	v_add_f32_e32 v102, v117, v118
	v_dual_sub_f32 v118, v44, v42 :: v_dual_add_f32 v67, v119, v85
	v_dual_add_f32 v85, v123, v124 :: v_dual_add_f32 v124, v41, v34
	v_dual_add_f32 v95, v45, v43 :: v_dual_fmac_f32 v50, 0x3f167918, v70
	v_dual_sub_f32 v97, v44, v45 :: v_dual_fmac_f32 v36, 0xbf167918, v70
	v_dual_sub_f32 v98, v42, v43 :: v_dual_add_f32 v99, v44, v42
	v_add_f32_e32 v70, v58, v59
	v_add_f32_e32 v117, v40, v35
	v_dual_add_f32 v101, v105, v106 :: v_dual_fmac_f32 v48, 0x3f167918, v71
	v_fma_f32 v32, -0.5, v113, v32
	v_fma_f32 v55, -0.5, v120, v33
	v_fmac_f32_e32 v33, -0.5, v125
	v_dual_sub_f32 v105, v41, v34 :: v_dual_fmac_f32 v46, 0xbf167918, v71
	v_sub_f32_e32 v106, v40, v35
	v_dual_sub_f32 v100, v45, v44 :: v_dual_sub_f32 v113, v43, v42
	v_dual_fmamk_f32 v58, v86, 0x3f737871, v52 :: v_dual_sub_f32 v119, v45, v43
	v_fmamk_f32 v64, v88, 0xbf737871, v38
	v_dual_sub_f32 v120, v41, v40 :: v_dual_sub_f32 v123, v34, v35
	v_fmac_f32_e32 v38, 0x3f737871, v88
	v_fmac_f32_e32 v49, 0xbf167918, v96
	;; [unrolled: 1-line block ×4, first 2 shown]
	v_add_f32_e32 v71, v65, v78
	v_fma_f32 v95, -0.5, v95, v60
	v_add_f32_e32 v78, v97, v98
	v_fma_f32 v97, -0.5, v99, v60
	v_fma_f32 v96, -0.5, v117, v61
	;; [unrolled: 1-line block ×3, first 2 shown]
	v_dual_add_f32 v83, v83, v126 :: v_dual_add_f32 v56, v57, v76
	v_dual_sub_f32 v125, v40, v41 :: v_dual_sub_f32 v126, v35, v34
	v_add_f32_e32 v57, v79, v81
	v_dual_fmamk_f32 v59, v93, 0xbf737871, v53 :: v_dual_fmamk_f32 v68, v104, 0xbf737871, v32
	v_dual_fmac_f32 v53, 0x3f737871, v93 :: v_dual_fmac_f32 v32, 0x3f737871, v104
	v_dual_add_f32 v76, v67, v87 :: v_dual_fmamk_f32 v67, v121, 0xbf737871, v55
	v_dual_add_f32 v70, v70, v90 :: v_dual_fmac_f32 v55, 0x3f737871, v121
	v_fmamk_f32 v69, v122, 0x3f737871, v33
	v_fmac_f32_e32 v33, 0xbf737871, v122
	v_dual_add_f32 v79, v100, v113 :: v_dual_fmac_f32 v48, 0x3e9e377a, v62
	v_dual_add_f32 v81, v120, v123 :: v_dual_fmac_f32 v46, 0x3e9e377a, v62
	v_dual_fmac_f32 v50, 0x3e9e377a, v63 :: v_dual_fmac_f32 v49, 0x3e9e377a, v77
	v_dual_fmac_f32 v36, 0x3e9e377a, v63 :: v_dual_fmac_f32 v47, 0x3e9e377a, v77
	v_fmamk_f32 v62, v105, 0x3f737871, v95
	v_fmac_f32_e32 v95, 0xbf737871, v105
	v_fmamk_f32 v99, v106, 0xbf737871, v97
	v_fmac_f32_e32 v97, 0x3f737871, v106
	;; [unrolled: 2-line block ×4, first 2 shown]
	v_dual_fmac_f32 v51, 0xbf167918, v74 :: v_dual_fmac_f32 v52, 0xbf167918, v88
	v_dual_fmac_f32 v37, 0x3f167918, v74 :: v_dual_fmac_f32 v58, 0x3f167918, v88
	v_fmamk_f32 v65, v94, 0x3f737871, v39
	v_add_f32_e32 v74, v66, v82
	v_add_f32_e32 v82, v125, v126
	v_fmac_f32_e32 v39, 0xbf737871, v94
	v_fmamk_f32 v66, v103, 0x3f737871, v54
	v_fmac_f32_e32 v54, 0xbf737871, v103
	v_dual_add_f32 v74, v74, v84 :: v_dual_fmac_f32 v59, 0xbf167918, v94
	s_delay_alu instid0(VALU_DEP_3)
	v_dual_fmac_f32 v53, 0x3f167918, v94 :: v_dual_fmac_f32 v66, 0x3f167918, v104
	v_dual_fmac_f32 v55, 0x3f167918, v122 :: v_dual_fmac_f32 v96, 0x3f167918, v119
	;; [unrolled: 1-line block ×4, first 2 shown]
	v_fmac_f32_e32 v95, 0xbf167918, v106
	v_dual_fmac_f32 v99, 0x3f167918, v105 :: v_dual_fmac_f32 v98, 0x3f167918, v118
	v_fmac_f32_e32 v97, 0xbf167918, v105
	v_fmac_f32_e32 v63, 0xbf167918, v119
	v_dual_fmac_f32 v64, 0x3f167918, v86 :: v_dual_add_f32 v71, v71, v80
	v_dual_fmac_f32 v38, 0xbf167918, v86 :: v_dual_fmac_f32 v65, 0xbf167918, v93
	v_dual_fmac_f32 v39, 0x3f167918, v93 :: v_dual_fmac_f32 v68, 0x3f167918, v103
	v_dual_fmac_f32 v67, 0xbf167918, v122 :: v_dual_fmac_f32 v32, 0xbf167918, v103
	v_fmac_f32_e32 v54, 0xbf167918, v104
	s_delay_alu instid0(VALU_DEP_4) | instskip(NEXT) | instid1(VALU_DEP_4)
	v_dual_fmac_f32 v58, 0x3e9e377a, v127 :: v_dual_fmac_f32 v65, 0x3e9e377a, v129
	v_dual_fmac_f32 v52, 0x3e9e377a, v127 :: v_dual_fmac_f32 v39, 0x3e9e377a, v129
	;; [unrolled: 1-line block ×3, first 2 shown]
	s_delay_alu instid0(VALU_DEP_4)
	v_dual_fmac_f32 v53, 0x3e9e377a, v91 :: v_dual_fmac_f32 v54, 0x3e9e377a, v101
	v_dual_fmac_f32 v69, 0x3e9e377a, v83 :: v_dual_fmac_f32 v62, 0x3e9e377a, v78
	;; [unrolled: 1-line block ×3, first 2 shown]
	v_fmac_f32_e32 v95, 0x3e9e377a, v78
	v_dual_fmac_f32 v99, 0x3e9e377a, v79 :: v_dual_fmac_f32 v100, 0x3e9e377a, v82
	v_dual_fmac_f32 v97, 0x3e9e377a, v79 :: v_dual_fmac_f32 v98, 0x3e9e377a, v82
	v_fmac_f32_e32 v63, 0x3e9e377a, v81
	v_and_b32_e32 v117, 0xffff, v73
	v_dual_fmac_f32 v51, 0x3e9e377a, v75 :: v_dual_fmac_f32 v64, 0x3e9e377a, v128
	v_dual_fmac_f32 v37, 0x3e9e377a, v75 :: v_dual_fmac_f32 v38, 0x3e9e377a, v128
	v_dual_add_f32 v75, v76, v89 :: v_dual_fmac_f32 v68, 0x3e9e377a, v102
	v_dual_fmac_f32 v67, 0x3e9e377a, v85 :: v_dual_fmac_f32 v32, 0x3e9e377a, v102
	v_fmac_f32_e32 v55, 0x3e9e377a, v85
	ds_store_2addr_b64 v116, v[56:57], v[48:49] offset1:17
	ds_store_2addr_b64 v116, v[50:51], v[36:37] offset0:34 offset1:51
	ds_store_b64 v116, v[46:47] offset:544
	ds_store_2addr_b64 v115, v[70:71], v[58:59] offset1:17
	ds_store_2addr_b64 v115, v[64:65], v[38:39] offset0:34 offset1:51
	ds_store_b64 v115, v[52:53] offset:544
	;; [unrolled: 3-line block ×3, first 2 shown]
	s_and_saveexec_b32 s1, s0
	s_cbranch_execz .LBB0_11
; %bb.10:
	v_dual_add_f32 v32, v61, v41 :: v_dual_add_f32 v33, v60, v44
	v_add_lshl_u32 v36, v72, v117, 3
	s_delay_alu instid0(VALU_DEP_2) | instskip(NEXT) | instid1(VALU_DEP_2)
	v_dual_add_f32 v32, v32, v40 :: v_dual_add_f32 v33, v33, v45
	v_add_nc_u32_e32 v38, 0x2800, v36
	s_delay_alu instid0(VALU_DEP_2) | instskip(NEXT) | instid1(VALU_DEP_3)
	v_dual_add_f32 v32, v32, v35 :: v_dual_add_nc_u32 v37, 0x2400, v36
	v_add_f32_e32 v35, v33, v43
	s_delay_alu instid0(VALU_DEP_2) | instskip(NEXT) | instid1(VALU_DEP_2)
	v_add_f32_e32 v33, v32, v34
	v_add_f32_e32 v32, v35, v42
	ds_store_2addr_b64 v38, v[99:100], v[97:98] offset0:29 offset1:46
	ds_store_2addr_b64 v37, v[32:33], v[62:63] offset0:123 offset1:140
	ds_store_b64 v36, v[95:96] offset:10744
.LBB0_11:
	s_wait_alu 0xfffe
	s_or_b32 exec_lo, exec_lo, s1
	v_mad_co_u64_u32 v[60:61], null, 0x78, v110, s[2:3]
	global_wb scope:SCOPE_SE
	s_wait_dscnt 0x0
	s_barrier_signal -1
	s_barrier_wait -1
	global_inv scope:SCOPE_SE
	v_lshl_add_u32 v113, v110, 3, v111
	s_clause 0x7
	global_load_b128 v[56:59], v[60:61], off offset:544
	global_load_b128 v[48:51], v[60:61], off offset:560
	;; [unrolled: 1-line block ×7, first 2 shown]
	global_load_b64 v[93:94], v[60:61], off offset:656
	ds_load_2addr_b64 v[64:67], v112 offset1:85
	ds_load_b64 v[60:61], v112 offset:1360
	v_add_nc_u32_e32 v68, 0x400, v112
	v_add_nc_u32_e32 v72, 0x800, v112
	s_wait_loadcnt_dscnt 0x700
	v_dual_mul_f32 v122, v61, v59 :: v_dual_add_nc_u32 v101, 0x400, v113
	v_mul_f32_e32 v121, v66, v57
	ds_load_2addr_b64 v[68:71], v68 offset0:127 offset1:212
	v_mul_f32_e32 v123, v60, v59
	ds_load_b64 v[105:106], v112 offset:10200
	ds_load_2addr_b64 v[72:75], v72 offset0:169 offset1:254
	v_add_nc_u32_e32 v76, 0x1000, v112
	v_add_nc_u32_e32 v80, 0x1400, v112
	;; [unrolled: 1-line block ×6, first 2 shown]
	v_fma_f32 v60, v60, v58, -v122
	v_fmac_f32_e32 v121, v67, v56
	s_wait_loadcnt_dscnt 0x602
	v_mul_f32_e32 v125, v68, v49
	v_mul_f32_e32 v127, v70, v51
	s_wait_loadcnt_dscnt 0x500
	v_dual_mul_f32 v130, v75, v43 :: v_dual_mul_f32 v129, v72, v41
	v_mul_f32_e32 v131, v74, v43
	ds_load_2addr_b64 v[76:79], v76 offset0:83 offset1:168
	ds_load_2addr_b64 v[80:83], v80 offset0:125 offset1:210
	;; [unrolled: 1-line block ×4, first 2 shown]
	v_add_nc_u32_e32 v102, 0x800, v113
	v_add_nc_u32_e32 v118, 0x1800, v113
	v_mul_f32_e32 v120, v67, v57
	v_mul_f32_e32 v124, v69, v49
	v_mul_f32_e32 v126, v71, v51
	v_dual_mul_f32 v128, v73, v41 :: v_dual_fmac_f32 v127, v71, v50
	s_wait_loadcnt 0x0
	v_dual_mul_f32 v148, v106, v94 :: v_dual_fmac_f32 v125, v69, v48
	v_add_nc_u32_e32 v104, 0x1400, v113
	v_fma_f32 v67, v70, v50, -v126
	v_fmac_f32_e32 v131, v75, v42
	v_fma_f32 v69, v74, v42, -v130
	s_wait_dscnt 0x3
	v_mul_f32_e32 v132, v77, v33
	v_dual_mul_f32 v133, v76, v33 :: v_dual_mul_f32 v134, v79, v35
	s_wait_dscnt 0x2
	v_dual_mul_f32 v135, v78, v35 :: v_dual_mul_f32 v136, v81, v53
	v_dual_mul_f32 v137, v80, v53 :: v_dual_mul_f32 v138, v83, v55
	s_wait_dscnt 0x1
	v_dual_mul_f32 v141, v84, v45 :: v_dual_mul_f32 v142, v87, v47
	s_wait_dscnt 0x0
	v_dual_mul_f32 v143, v86, v47 :: v_dual_mul_f32 v144, v89, v37
	v_mul_f32_e32 v147, v90, v39
	v_dual_mul_f32 v139, v82, v55 :: v_dual_mul_f32 v140, v85, v45
	v_dual_mul_f32 v145, v88, v37 :: v_dual_mul_f32 v146, v91, v39
	v_fma_f32 v66, v66, v56, -v120
	v_fma_f32 v70, v76, v32, -v132
	v_fma_f32 v71, v78, v34, -v134
	v_fmac_f32_e32 v135, v79, v34
	v_fma_f32 v75, v86, v46, -v142
	v_fmac_f32_e32 v143, v87, v46
	v_mul_f32_e32 v149, v105, v94
	v_fma_f32 v76, v88, v36, -v144
	v_fmac_f32_e32 v147, v91, v38
	v_fmac_f32_e32 v123, v61, v58
	v_fma_f32 v61, v68, v48, -v124
	v_fma_f32 v68, v72, v40, -v128
	v_fma_f32 v72, v80, v52, -v136
	v_fma_f32 v78, v105, v93, -v148
	v_fmac_f32_e32 v129, v73, v40
	v_fma_f32 v73, v82, v54, -v138
	v_fmac_f32_e32 v139, v83, v54
	v_fma_f32 v74, v84, v44, -v140
	v_dual_sub_f32 v78, v70, v78 :: v_dual_fmac_f32 v145, v89, v36
	v_sub_f32_e32 v71, v64, v71
	s_delay_alu instid0(VALU_DEP_3)
	v_dual_sub_f32 v75, v67, v75 :: v_dual_sub_f32 v74, v61, v74
	v_dual_sub_f32 v80, v127, v143 :: v_dual_fmac_f32 v149, v106, v93
	v_dual_sub_f32 v76, v68, v76 :: v_dual_sub_f32 v79, v65, v135
	v_dual_sub_f32 v73, v60, v73 :: v_dual_sub_f32 v72, v66, v72
	v_dual_sub_f32 v82, v131, v147 :: v_dual_fmac_f32 v133, v77, v32
	v_fma_f32 v77, v90, v38, -v146
	v_fma_f32 v67, v67, 2.0, -v75
	v_fma_f32 v87, v127, 2.0, -v80
	s_delay_alu instid0(VALU_DEP_4)
	v_fma_f32 v89, v131, 2.0, -v82
	v_sub_f32_e32 v80, v71, v80
	v_dual_add_f32 v75, v79, v75 :: v_dual_sub_f32 v82, v73, v82
	v_fmac_f32_e32 v137, v81, v52
	v_sub_f32_e32 v77, v69, v77
	v_fma_f32 v66, v66, 2.0, -v72
	v_fma_f32 v68, v68, 2.0, -v76
	s_delay_alu instid0(VALU_DEP_4)
	v_dual_fmamk_f32 v120, v82, 0x3f3504f3, v80 :: v_dual_sub_f32 v83, v121, v137
	v_dual_sub_f32 v81, v123, v139 :: v_dual_sub_f32 v86, v133, v149
	v_fma_f32 v69, v69, 2.0, -v77
	v_fma_f32 v61, v61, 2.0, -v74
	;; [unrolled: 1-line block ×3, first 2 shown]
	v_sub_f32_e32 v68, v66, v68
	v_add_f32_e32 v76, v83, v76
	v_fma_f32 v60, v60, 2.0, -v73
	v_fma_f32 v106, v133, 2.0, -v86
	v_sub_f32_e32 v70, v61, v70
	v_dual_add_f32 v77, v81, v77 :: v_dual_sub_f32 v86, v74, v86
	s_delay_alu instid0(VALU_DEP_4) | instskip(SKIP_2) | instid1(VALU_DEP_4)
	v_sub_f32_e32 v69, v60, v69
	v_fma_f32 v88, v123, 2.0, -v81
	v_fma_f32 v90, v121, 2.0, -v83
	v_fmac_f32_e32 v120, 0xbf3504f3, v77
	v_sub_f32_e32 v84, v129, v145
	v_fma_f32 v64, v64, 2.0, -v71
	v_fma_f32 v65, v65, 2.0, -v79
	;; [unrolled: 1-line block ×5, first 2 shown]
	v_sub_f32_e32 v84, v72, v84
	v_fmac_f32_e32 v141, v85, v44
	v_fmamk_f32 v121, v77, 0x3f3504f3, v75
	v_sub_f32_e32 v67, v64, v67
	v_sub_f32_e32 v91, v90, v91
	s_delay_alu instid0(VALU_DEP_4)
	v_dual_fmamk_f32 v122, v86, 0x3f3504f3, v84 :: v_dual_sub_f32 v85, v125, v141
	v_fma_f32 v71, v71, 2.0, -v80
	v_fma_f32 v73, v73, 2.0, -v82
	;; [unrolled: 1-line block ×3, first 2 shown]
	v_fmac_f32_e32 v121, 0x3f3504f3, v82
	v_fma_f32 v105, v125, 2.0, -v85
	v_sub_f32_e32 v89, v88, v89
	v_fma_f32 v72, v72, 2.0, -v84
	v_fma_f32 v74, v74, 2.0, -v86
	;; [unrolled: 1-line block ×3, first 2 shown]
	v_sub_f32_e32 v106, v105, v106
	v_fma_f32 v88, v88, 2.0, -v89
	v_fma_f32 v83, v83, 2.0, -v76
	;; [unrolled: 1-line block ×5, first 2 shown]
	v_sub_f32_e32 v82, v68, v106
	v_add_f32_e32 v78, v85, v78
	v_add_f32_e32 v106, v91, v70
	v_fma_f32 v81, v81, 2.0, -v77
	s_delay_alu instid0(VALU_DEP_3) | instskip(NEXT) | instid1(VALU_DEP_2)
	v_dual_sub_f32 v87, v65, v87 :: v_dual_fmac_f32 v122, 0xbf3504f3, v78
	v_dual_sub_f32 v89, v67, v89 :: v_dual_fmamk_f32 v126, v81, 0xbf3504f3, v79
	v_fma_f32 v90, v90, 2.0, -v91
	v_fmamk_f32 v125, v73, 0xbf3504f3, v71
	v_fma_f32 v85, v85, 2.0, -v78
	v_fma_f32 v65, v65, 2.0, -v87
	v_dual_fmamk_f32 v123, v78, 0x3f3504f3, v76 :: v_dual_sub_f32 v78, v64, v60
	v_sub_f32_e32 v70, v90, v66
	v_fmamk_f32 v60, v122, 0x3f6c835e, v120
	s_delay_alu instid0(VALU_DEP_4)
	v_dual_sub_f32 v88, v65, v88 :: v_dual_add_f32 v105, v87, v69
	v_fmamk_f32 v66, v82, 0x3f3504f3, v89
	v_fmac_f32_e32 v125, 0xbf3504f3, v81
	v_fma_f32 v81, v67, 2.0, -v89
	v_fmamk_f32 v77, v74, 0xbf3504f3, v72
	v_fmamk_f32 v127, v85, 0xbf3504f3, v83
	v_fma_f32 v91, v91, 2.0, -v106
	v_fma_f32 v128, v87, 2.0, -v105
	;; [unrolled: 1-line block ×3, first 2 shown]
	v_dual_sub_f32 v70, v78, v70 :: v_dual_fmac_f32 v77, 0xbf3504f3, v85
	v_fma_f32 v85, v68, 2.0, -v82
	v_dual_fmac_f32 v127, 0x3f3504f3, v74 :: v_dual_fmac_f32 v126, 0x3f3504f3, v73
	v_fmac_f32_e32 v66, 0xbf3504f3, v106
	v_fma_f32 v130, v64, 2.0, -v78
	s_delay_alu instid0(VALU_DEP_4)
	v_fmamk_f32 v74, v85, 0xbf3504f3, v81
	v_fma_f32 v129, v75, 2.0, -v121
	v_fma_f32 v133, v79, 2.0, -v126
	;; [unrolled: 1-line block ×4, first 2 shown]
	v_dual_fmac_f32 v74, 0xbf3504f3, v91 :: v_dual_sub_f32 v73, v124, v61
	v_fmamk_f32 v64, v77, 0x3ec3ef15, v125
	v_fma_f32 v132, v71, 2.0, -v125
	v_fma_f32 v90, v72, 2.0, -v77
	v_fmamk_f32 v67, v106, 0x3f3504f3, v105
	v_fma_f32 v79, v124, 2.0, -v73
	v_fmac_f32_e32 v123, 0x3f3504f3, v86
	v_fma_f32 v124, v83, 2.0, -v127
	v_fmamk_f32 v75, v91, 0xbf3504f3, v128
	v_dual_fmamk_f32 v68, v84, 0xbec3ef15, v80 :: v_dual_sub_f32 v87, v131, v87
	v_sub_f32_e32 v86, v130, v79
	v_fma_f32 v76, v76, 2.0, -v123
	v_fmamk_f32 v61, v123, 0x3f6c835e, v121
	v_dual_add_f32 v71, v88, v73 :: v_dual_fmamk_f32 v72, v90, 0xbf6c835e, v132
	v_fmamk_f32 v65, v127, 0x3ec3ef15, v126
	s_delay_alu instid0(VALU_DEP_4)
	v_dual_fmamk_f32 v69, v76, 0xbec3ef15, v129 :: v_dual_fmac_f32 v60, 0xbec3ef15, v123
	v_dual_fmamk_f32 v73, v124, 0xbf6c835e, v133 :: v_dual_fmac_f32 v68, 0xbf6c835e, v76
	v_fmac_f32_e32 v67, 0x3f3504f3, v82
	v_fmac_f32_e32 v61, 0x3ec3ef15, v122
	;; [unrolled: 1-line block ×8, first 2 shown]
	v_fma_f32 v82, v78, 2.0, -v70
	v_fma_f32 v83, v88, 2.0, -v71
	;; [unrolled: 1-line block ×16, first 2 shown]
	ds_store_b64 v113, v[105:106]
	ds_store_2addr_b64 v101, v[80:81], v[82:83] offset0:127 offset1:212
	ds_store_2addr_b64 v102, v[76:77], v[78:79] offset0:169 offset1:254
	;; [unrolled: 1-line block ×6, first 2 shown]
	ds_store_b64 v113, v[60:61] offset:10200
	ds_store_2addr_b64 v113, v[88:89], v[90:91] offset0:85 offset1:170
	global_wb scope:SCOPE_SE
	s_wait_dscnt 0x0
	s_barrier_signal -1
	s_barrier_wait -1
	global_inv scope:SCOPE_SE
	s_and_saveexec_b32 s1, vcc_lo
	s_cbranch_execz .LBB0_13
; %bb.12:
	global_load_b64 v[120:121], v108, s[12:13] offset:10880
	s_add_nc_u64 s[2:3], s[12:13], 0x2a80
	s_clause 0xf
	global_load_b64 v[152:153], v108, s[2:3] offset:640
	global_load_b64 v[154:155], v108, s[2:3] offset:1280
	;; [unrolled: 1-line block ×16, first 2 shown]
	ds_load_b64 v[122:123], v113
	v_add_nc_u32_e32 v185, 0x2400, v113
	s_wait_loadcnt_dscnt 0x1000
	v_mul_f32_e32 v124, v123, v121
	v_mul_f32_e32 v125, v122, v121
	s_delay_alu instid0(VALU_DEP_2) | instskip(NEXT) | instid1(VALU_DEP_2)
	v_fma_f32 v124, v122, v120, -v124
	v_fmac_f32_e32 v125, v123, v120
	ds_store_b64 v113, v[124:125]
	ds_load_2addr_b64 v[120:123], v113 offset0:80 offset1:160
	ds_load_2addr_b64 v[124:127], v101 offset0:112 offset1:192
	;; [unrolled: 1-line block ×8, first 2 shown]
	s_wait_loadcnt_dscnt 0xf07
	v_mul_f32_e32 v186, v121, v153
	s_wait_loadcnt 0xe
	v_dual_mul_f32 v184, v120, v153 :: v_dual_mul_f32 v187, v123, v155
	s_wait_loadcnt_dscnt 0xd06
	v_dual_mul_f32 v153, v122, v155 :: v_dual_mul_f32 v188, v125, v157
	s_wait_loadcnt 0xc
	v_mul_f32_e32 v189, v127, v159
	v_mul_f32_e32 v155, v124, v157
	s_wait_loadcnt_dscnt 0xb05
	v_dual_mul_f32 v157, v126, v159 :: v_dual_mul_f32 v190, v129, v161
	v_mul_f32_e32 v159, v128, v161
	s_wait_loadcnt_dscnt 0x904
	v_dual_mul_f32 v191, v131, v163 :: v_dual_mul_f32 v192, v133, v165
	s_wait_loadcnt_dscnt 0x703
	v_dual_mul_f32 v161, v130, v163 :: v_dual_mul_f32 v194, v137, v169
	v_mul_f32_e32 v163, v132, v165
	s_wait_loadcnt_dscnt 0x502
	v_dual_mul_f32 v193, v135, v167 :: v_dual_mul_f32 v196, v141, v173
	;; [unrolled: 5-line block ×3, first 2 shown]
	v_mul_f32_e32 v169, v138, v171
	v_mul_f32_e32 v171, v140, v173
	;; [unrolled: 1-line block ×8, first 2 shown]
	s_wait_loadcnt 0x0
	v_mul_f32_e32 v201, v151, v183
	v_mul_f32_e32 v181, v150, v183
	v_fma_f32 v183, v120, v152, -v186
	v_fmac_f32_e32 v184, v121, v152
	v_fma_f32 v152, v122, v154, -v187
	v_fmac_f32_e32 v153, v123, v154
	;; [unrolled: 2-line block ×16, first 2 shown]
	ds_store_2addr_b64 v113, v[183:184], v[152:153] offset0:80 offset1:160
	ds_store_2addr_b64 v101, v[154:155], v[156:157] offset0:112 offset1:192
	;; [unrolled: 1-line block ×8, first 2 shown]
.LBB0_13:
	s_wait_alu 0xfffe
	s_or_b32 exec_lo, exec_lo, s1
	global_wb scope:SCOPE_SE
	s_wait_dscnt 0x0
	s_barrier_signal -1
	s_barrier_wait -1
	global_inv scope:SCOPE_SE
	s_and_saveexec_b32 s1, vcc_lo
	s_cbranch_execz .LBB0_15
; %bb.14:
	v_add_nc_u32_e32 v60, 0x400, v113
	v_add_nc_u32_e32 v61, 0x800, v113
	;; [unrolled: 1-line block ×3, first 2 shown]
	ds_load_b64 v[105:106], v113
	ds_load_2addr_b64 v[88:91], v113 offset0:80 offset1:160
	ds_load_2addr_b64 v[80:83], v60 offset0:112 offset1:192
	;; [unrolled: 1-line block ×3, first 2 shown]
	v_add_nc_u32_e32 v60, 0x1000, v113
	v_add_nc_u32_e32 v61, 0x1400, v113
	;; [unrolled: 1-line block ×4, first 2 shown]
	ds_load_2addr_b64 v[84:87], v60 offset0:48 offset1:128
	ds_load_2addr_b64 v[72:75], v61 offset0:80 offset1:160
	;; [unrolled: 1-line block ×5, first 2 shown]
.LBB0_15:
	s_wait_alu 0xfffe
	s_or_b32 exec_lo, exec_lo, s1
	s_wait_dscnt 0x0
	v_dual_sub_f32 v173, v89, v63 :: v_dual_add_f32 v142, v63, v89
	v_dual_add_f32 v135, v62, v88 :: v_dual_add_f32 v118, v60, v90
	s_delay_alu instid0(VALU_DEP_2) | instskip(NEXT) | instid1(VALU_DEP_3)
	v_dual_sub_f32 v139, v88, v62 :: v_dual_mul_f32 v146, 0xbf2c7751, v173
	v_dual_mul_f32 v149, 0x3f3d2fb0, v142 :: v_dual_sub_f32 v176, v81, v67
	v_dual_mul_f32 v141, 0x3f6eb680, v142 :: v_dual_sub_f32 v128, v90, v60
	s_delay_alu instid0(VALU_DEP_3) | instskip(SKIP_1) | instid1(VALU_DEP_4)
	v_fma_f32 v103, 0x3f3d2fb0, v135, -v146
	v_mul_f32_e32 v137, 0xbeb8f4ab, v173
	v_fmamk_f32 v104, v139, 0xbf2c7751, v149
	s_delay_alu instid0(VALU_DEP_4) | instskip(NEXT) | instid1(VALU_DEP_4)
	v_dual_fmamk_f32 v102, v139, 0xbeb8f4ab, v141 :: v_dual_add_f32 v119, v61, v91
	v_add_f32_e32 v103, v105, v103
	s_delay_alu instid0(VALU_DEP_3) | instskip(SKIP_1) | instid1(VALU_DEP_4)
	v_dual_sub_f32 v175, v91, v61 :: v_dual_add_f32 v104, v106, v104
	v_fma_f32 v101, 0x3f6eb680, v135, -v137
	v_dual_add_f32 v102, v106, v102 :: v_dual_mul_f32 v143, 0x3f3d2fb0, v119
	s_delay_alu instid0(VALU_DEP_3) | instskip(SKIP_1) | instid1(VALU_DEP_4)
	v_mul_f32_e32 v138, 0xbf2c7751, v175
	v_dual_mul_f32 v147, 0xbf65296c, v176 :: v_dual_sub_f32 v136, v80, v66
	v_add_f32_e32 v101, v105, v101
	v_sub_f32_e32 v177, v83, v65
	s_delay_alu instid0(VALU_DEP_4)
	v_fma_f32 v120, 0x3f3d2fb0, v118, -v138
	global_wb scope:SCOPE_SE
	s_barrier_signal -1
	s_barrier_wait -1
	v_dual_mul_f32 v134, 0x3dbcf732, v119 :: v_dual_add_f32 v101, v120, v101
	v_add_f32_e32 v120, v66, v80
	global_inv scope:SCOPE_SE
	v_mul_f32_e32 v140, 0xbf4c4adb, v176
	v_fmamk_f32 v123, v128, 0xbf7ee86f, v134
	v_fmamk_f32 v121, v128, 0xbf2c7751, v143
	v_fma_f32 v124, 0x3ee437d1, v120, -v147
	v_sub_f32_e32 v178, v77, v71
	v_sub_f32_e32 v156, v78, v68
	v_dual_add_f32 v104, v123, v104 :: v_dual_mul_f32 v131, 0xbf7ee86f, v175
	v_dual_add_f32 v102, v121, v102 :: v_dual_add_f32 v121, v67, v81
	s_delay_alu instid0(VALU_DEP_4) | instskip(SKIP_1) | instid1(VALU_DEP_4)
	v_mul_f32_e32 v159, 0xbf763a35, v178
	v_sub_f32_e32 v152, v76, v70
	v_fma_f32 v122, 0x3dbcf732, v118, -v131
	v_mul_f32_e32 v154, 0x3f06c442, v178
	v_mul_f32_e32 v150, 0x3ee437d1, v121
	;; [unrolled: 1-line block ×3, first 2 shown]
	v_sub_f32_e32 v180, v85, v75
	v_dual_add_f32 v103, v122, v103 :: v_dual_add_f32 v122, v64, v82
	s_delay_alu instid0(VALU_DEP_4) | instskip(SKIP_3) | instid1(VALU_DEP_4)
	v_fmamk_f32 v123, v136, 0xbf65296c, v150
	v_add_f32_e32 v101, v124, v101
	v_fma_f32 v124, 0xbf1a4643, v120, -v140
	v_dual_sub_f32 v145, v82, v64 :: v_dual_mul_f32 v148, 0xbe3c28d5, v177
	v_dual_add_f32 v102, v123, v102 :: v_dual_add_f32 v123, v65, v83
	v_fmamk_f32 v125, v136, 0xbf4c4adb, v144
	s_delay_alu instid0(VALU_DEP_4) | instskip(NEXT) | instid1(VALU_DEP_4)
	v_dual_add_f32 v103, v124, v103 :: v_dual_add_f32 v124, v70, v76
	v_fma_f32 v127, 0xbf7ba420, v122, -v148
	s_delay_alu instid0(VALU_DEP_4) | instskip(NEXT) | instid1(VALU_DEP_4)
	v_mul_f32_e32 v157, 0x3dbcf732, v123
	v_dual_mul_f32 v153, 0xbf7ee86f, v177 :: v_dual_add_f32 v104, v125, v104
	v_mul_f32_e32 v151, 0xbf7ba420, v123
	v_add_f32_e32 v125, v71, v77
	v_fma_f32 v130, 0xbe8c1d8e, v124, -v159
	s_delay_alu instid0(VALU_DEP_4) | instskip(SKIP_3) | instid1(VALU_DEP_4)
	v_fma_f32 v126, 0x3dbcf732, v122, -v153
	v_dual_sub_f32 v161, v84, v74 :: v_dual_mul_f32 v160, 0x3f65296c, v180
	v_fmamk_f32 v129, v145, 0xbe3c28d5, v151
	v_mul_f32_e32 v162, 0xbe8c1d8e, v125
	v_dual_add_f32 v101, v126, v101 :: v_dual_fmamk_f32 v126, v145, 0xbf7ee86f, v157
	v_dual_add_f32 v103, v127, v103 :: v_dual_mul_f32 v158, 0xbf59a7d5, v125
	v_dual_sub_f32 v179, v79, v69 :: v_dual_mul_f32 v170, 0xbf06c442, v180
	s_delay_alu instid0(VALU_DEP_3) | instskip(SKIP_1) | instid1(VALU_DEP_4)
	v_add_f32_e32 v102, v126, v102
	v_add_f32_e32 v126, v68, v78
	v_fmamk_f32 v132, v152, 0x3f06c442, v158
	v_add_f32_e32 v104, v129, v104
	v_add_f32_e32 v127, v69, v79
	v_fmamk_f32 v129, v152, 0xbf763a35, v162
	v_dual_add_f32 v101, v130, v101 :: v_dual_mul_f32 v164, 0xbf4c4adb, v179
	s_delay_alu instid0(VALU_DEP_3) | instskip(NEXT) | instid1(VALU_DEP_3)
	v_dual_add_f32 v104, v132, v104 :: v_dual_mul_f32 v167, 0xbf1a4643, v127
	v_add_f32_e32 v102, v129, v102
	v_fma_f32 v130, 0xbf59a7d5, v124, -v154
	s_delay_alu instid0(VALU_DEP_4) | instskip(NEXT) | instid1(VALU_DEP_4)
	v_fma_f32 v133, 0xbf1a4643, v126, -v164
	v_fmamk_f32 v129, v156, 0xbf4c4adb, v167
	s_delay_alu instid0(VALU_DEP_3) | instskip(NEXT) | instid1(VALU_DEP_3)
	v_dual_add_f32 v103, v130, v103 :: v_dual_add_f32 v130, v75, v85
	v_add_f32_e32 v101, v133, v101
	s_delay_alu instid0(VALU_DEP_3) | instskip(NEXT) | instid1(VALU_DEP_1)
	v_dual_add_f32 v102, v129, v102 :: v_dual_mul_f32 v163, 0xbe8c1d8e, v127
	v_fmamk_f32 v133, v156, 0x3f763a35, v163
	s_delay_alu instid0(VALU_DEP_1) | instskip(SKIP_1) | instid1(VALU_DEP_2)
	v_dual_mul_f32 v155, 0x3f763a35, v179 :: v_dual_add_f32 v104, v133, v104
	v_add_f32_e32 v133, v73, v87
	v_fma_f32 v132, 0xbe8c1d8e, v126, -v155
	s_delay_alu instid0(VALU_DEP_2) | instskip(SKIP_1) | instid1(VALU_DEP_3)
	v_mul_f32_e32 v174, 0xbf7ba420, v133
	v_sub_f32_e32 v181, v87, v73
	v_add_f32_e32 v103, v132, v103
	v_mul_f32_e32 v169, 0x3f6eb680, v133
	s_delay_alu instid0(VALU_DEP_3) | instskip(SKIP_1) | instid1(VALU_DEP_1)
	v_mul_f32_e32 v172, 0xbe3c28d5, v181
	v_mul_f32_e32 v171, 0xbf59a7d5, v130
	v_dual_add_f32 v129, v74, v84 :: v_dual_fmamk_f32 v132, v161, 0xbf06c442, v171
	s_delay_alu instid0(VALU_DEP_1) | instskip(SKIP_1) | instid1(VALU_DEP_3)
	v_fma_f32 v166, 0x3ee437d1, v129, -v160
	v_fma_f32 v165, 0xbf59a7d5, v129, -v170
	v_add_f32_e32 v102, v132, v102
	s_delay_alu instid0(VALU_DEP_3) | instskip(NEXT) | instid1(VALU_DEP_3)
	v_add_f32_e32 v182, v166, v103
	v_dual_sub_f32 v166, v86, v72 :: v_dual_add_f32 v101, v165, v101
	s_delay_alu instid0(VALU_DEP_1) | instskip(SKIP_1) | instid1(VALU_DEP_1)
	v_dual_add_f32 v132, v72, v86 :: v_dual_fmamk_f32 v185, v166, 0x3eb8f4ab, v169
	v_mul_f32_e32 v165, 0x3ee437d1, v130
	v_fmamk_f32 v103, v161, 0x3f65296c, v165
	s_delay_alu instid0(VALU_DEP_1) | instskip(SKIP_2) | instid1(VALU_DEP_3)
	v_dual_add_f32 v183, v103, v104 :: v_dual_fmamk_f32 v104, v166, 0xbe3c28d5, v174
	v_mul_f32_e32 v168, 0x3eb8f4ab, v181
	v_fma_f32 v103, 0xbf7ba420, v132, -v172
	v_add_f32_e32 v104, v104, v102
	s_delay_alu instid0(VALU_DEP_3) | instskip(NEXT) | instid1(VALU_DEP_3)
	v_fma_f32 v184, 0x3f6eb680, v132, -v168
	v_dual_add_f32 v103, v103, v101 :: v_dual_add_f32 v102, v185, v183
	s_delay_alu instid0(VALU_DEP_2)
	v_add_f32_e32 v101, v184, v182
	s_and_saveexec_b32 s1, vcc_lo
	s_cbranch_execz .LBB0_17
; %bb.16:
	v_dual_add_f32 v89, v89, v106 :: v_dual_add_f32 v88, v88, v105
	v_mul_f32_e32 v185, 0xbe3c28d5, v128
	v_mul_f32_e32 v189, 0xbe3c28d5, v175
	v_dual_mul_f32 v182, 0xbf06c442, v166 :: v_dual_mul_f32 v183, 0xbf06c442, v181
	s_delay_alu instid0(VALU_DEP_4) | instskip(SKIP_2) | instid1(VALU_DEP_3)
	v_dual_add_f32 v89, v91, v89 :: v_dual_add_f32 v88, v90, v88
	v_mul_f32_e32 v184, 0xbf7ee86f, v139
	v_mul_f32_e32 v203, 0x3f06c442, v175
	v_dual_mul_f32 v186, 0x3f763a35, v136 :: v_dual_add_f32 v81, v81, v89
	s_delay_alu instid0(VALU_DEP_4) | instskip(SKIP_3) | instid1(VALU_DEP_4)
	v_add_f32_e32 v80, v80, v88
	v_mul_f32_e32 v188, 0xbf7ee86f, v173
	v_mul_f32_e32 v190, 0xbf65296c, v152
	v_mul_f32_e32 v191, 0x3f763a35, v176
	v_dual_add_f32 v81, v83, v81 :: v_dual_add_f32 v80, v82, v80
	v_mul_f32_e32 v201, 0xbf65296c, v145
	v_mul_f32_e32 v192, 0xbf06c442, v156
	v_dual_mul_f32 v194, 0x3f4c4adb, v161 :: v_dual_mul_f32 v197, 0x3f4c4adb, v180
	s_delay_alu instid0(VALU_DEP_4) | instskip(SKIP_1) | instid1(VALU_DEP_2)
	v_dual_add_f32 v77, v77, v81 :: v_dual_add_f32 v76, v76, v80
	v_dual_mul_f32 v198, 0x3f2c7751, v166 :: v_dual_mul_f32 v205, 0x3f2c7751, v176
	v_dual_mul_f32 v196, 0xbf06c442, v179 :: v_dual_add_f32 v77, v79, v77
	s_delay_alu instid0(VALU_DEP_3) | instskip(SKIP_3) | instid1(VALU_DEP_4)
	v_add_f32_e32 v76, v78, v76
	v_mul_f32_e32 v78, 0xbf65296c, v139
	v_mul_f32_e32 v219, 0x3f763a35, v175
	;; [unrolled: 1-line block ×3, first 2 shown]
	v_dual_add_f32 v77, v85, v77 :: v_dual_add_f32 v76, v84, v76
	v_dual_mul_f32 v204, 0xbe3c28d5, v152 :: v_dual_mul_f32 v209, 0xbe3c28d5, v178
	s_delay_alu instid0(VALU_DEP_2) | instskip(NEXT) | instid1(VALU_DEP_3)
	v_dual_mul_f32 v206, 0x3f7ee86f, v156 :: v_dual_add_f32 v77, v87, v77
	v_add_f32_e32 v76, v86, v76
	v_dual_mul_f32 v86, 0x3f2c7751, v152 :: v_dual_mul_f32 v87, 0x3f2c7751, v178
	v_dual_mul_f32 v208, 0xbeb8f4ab, v161 :: v_dual_mul_f32 v211, 0xbeb8f4ab, v180
	s_delay_alu instid0(VALU_DEP_3) | instskip(SKIP_2) | instid1(VALU_DEP_3)
	v_dual_add_f32 v73, v73, v77 :: v_dual_add_f32 v72, v72, v76
	v_mul_f32_e32 v76, 0xbf763a35, v139
	v_dual_mul_f32 v210, 0x3f7ee86f, v179 :: v_dual_mul_f32 v225, 0x3f7ee86f, v178
	v_dual_add_f32 v73, v75, v73 :: v_dual_add_f32 v72, v74, v72
	v_mul_f32_e32 v212, 0xbf4c4adb, v166
	v_mul_f32_e32 v214, 0xbf4c4adb, v139
	;; [unrolled: 1-line block ×3, first 2 shown]
	s_delay_alu instid0(VALU_DEP_4) | instskip(SKIP_3) | instid1(VALU_DEP_4)
	v_dual_add_f32 v69, v69, v73 :: v_dual_add_f32 v68, v68, v72
	v_mul_f32_e32 v231, 0x3f4c4adb, v145
	v_mul_f32_e32 v233, 0x3f65296c, v175
	;; [unrolled: 1-line block ×3, first 2 shown]
	v_dual_add_f32 v69, v71, v69 :: v_dual_add_f32 v68, v70, v68
	v_fma_f32 v70, 0xbe8c1d8e, v118, -v219
	v_mul_f32_e32 v200, 0x3f2c7751, v136
	v_fma_f32 v72, 0x3ee437d1, v118, -v233
	s_delay_alu instid0(VALU_DEP_4) | instskip(SKIP_2) | instid1(VALU_DEP_3)
	v_dual_add_f32 v65, v65, v69 :: v_dual_add_f32 v64, v64, v68
	v_fma_f32 v68, 0xbf59a7d5, v118, -v203
	v_mul_f32_e32 v216, 0xbeb8f4ab, v136
	v_dual_mul_f32 v220, 0x3f7ee86f, v152 :: v_dual_add_f32 v65, v67, v65
	s_delay_alu instid0(VALU_DEP_4) | instskip(SKIP_2) | instid1(VALU_DEP_4)
	v_add_f32_e32 v64, v66, v64
	v_fma_f32 v66, 0xbf7ba420, v118, -v189
	v_mul_f32_e32 v221, 0xbeb8f4ab, v176
	v_dual_mul_f32 v222, 0xbf2c7751, v156 :: v_dual_add_f32 v61, v61, v65
	s_delay_alu instid0(VALU_DEP_4) | instskip(SKIP_2) | instid1(VALU_DEP_3)
	v_add_f32_e32 v60, v60, v64
	v_dual_mul_f32 v224, 0xbe3c28d5, v161 :: v_dual_mul_f32 v227, 0xbe3c28d5, v180
	v_dual_mul_f32 v228, 0x3f65296c, v166 :: v_dual_mul_f32 v75, 0x3f65296c, v128
	v_dual_add_f32 v61, v63, v61 :: v_dual_add_f32 v60, v62, v60
	v_fmamk_f32 v62, v142, 0x3ee437d1, v78
	v_mul_f32_e32 v79, 0xbf4c4adb, v128
	v_mul_f32_e32 v226, 0xbf2c7751, v179
	;; [unrolled: 1-line block ×4, first 2 shown]
	s_delay_alu instid0(VALU_DEP_4) | instskip(SKIP_2) | instid1(VALU_DEP_3)
	v_dual_add_f32 v62, v106, v62 :: v_dual_fmamk_f32 v63, v119, 0xbf1a4643, v79
	v_mul_f32_e32 v232, 0xbf06c442, v173
	v_dual_mul_f32 v234, 0xbeb8f4ab, v152 :: v_dual_mul_f32 v239, 0xbeb8f4ab, v178
	v_dual_mul_f32 v81, 0xbf4c4adb, v175 :: v_dual_add_f32 v62, v63, v62
	v_mul_f32_e32 v175, 0x3eb8f4ab, v175
	v_mul_f32_e32 v245, 0x3eb8f4ab, v128
	;; [unrolled: 1-line block ×3, first 2 shown]
	s_delay_alu instid0(VALU_DEP_4) | instskip(SKIP_4) | instid1(VALU_DEP_4)
	v_fma_f32 v64, 0xbf1a4643, v118, -v81
	v_mul_f32_e32 v80, 0xbf65296c, v173
	v_fma_f32 v248, 0x3f6eb680, v118, -v175
	v_mul_f32_e32 v173, 0xbe3c28d5, v173
	v_dual_mul_f32 v238, 0x3f2c7751, v161 :: v_dual_mul_f32 v241, 0x3f2c7751, v180
	v_fma_f32 v63, 0x3ee437d1, v135, -v80
	v_mul_f32_e32 v247, 0x3f2c7751, v145
	v_mul_f32_e32 v240, 0xbe3c28d5, v179
	;; [unrolled: 1-line block ×3, first 2 shown]
	v_fma_f32 v79, 0xbf1a4643, v119, -v79
	v_add_f32_e32 v63, v105, v63
	v_fmamk_f32 v65, v119, 0xbf7ba420, v185
	v_dual_mul_f32 v88, 0xbeb8f4ab, v156 :: v_dual_mul_f32 v89, 0xbeb8f4ab, v179
	s_delay_alu instid0(VALU_DEP_3)
	v_dual_mul_f32 v90, 0xbf7ee86f, v161 :: v_dual_add_f32 v63, v64, v63
	v_mul_f32_e32 v82, 0x3e3c28d5, v136
	v_fmac_f32_e32 v80, 0x3ee437d1, v135
	v_mul_f32_e32 v91, 0xbf7ee86f, v180
	v_mul_f32_e32 v187, 0x3eb8f4ab, v145
	;; [unrolled: 1-line block ×3, first 2 shown]
	v_fmamk_f32 v64, v121, 0xbf7ba420, v82
	v_mul_f32_e32 v195, 0xbf65296c, v178
	v_mul_f32_e32 v199, 0x3f2c7751, v181
	;; [unrolled: 1-line block ×3, first 2 shown]
	s_delay_alu instid0(VALU_DEP_4) | instskip(SKIP_2) | instid1(VALU_DEP_4)
	v_dual_mul_f32 v207, 0xbf65296c, v177 :: v_dual_add_f32 v62, v64, v62
	v_mul_f32_e32 v83, 0x3e3c28d5, v176
	v_mul_f32_e32 v213, 0xbf4c4adb, v181
	v_fmamk_f32 v67, v119, 0xbf59a7d5, v77
	v_fma_f32 v77, 0xbf59a7d5, v119, -v77
	v_fmamk_f32 v69, v119, 0xbe8c1d8e, v215
	v_fma_f32 v64, 0xbf7ba420, v120, -v83
	v_mul_f32_e32 v217, 0xbf06c442, v145
	v_mul_f32_e32 v223, 0xbf06c442, v177
	;; [unrolled: 1-line block ×3, first 2 shown]
	v_fmamk_f32 v71, v119, 0x3ee437d1, v75
	v_dual_add_f32 v63, v64, v63 :: v_dual_mul_f32 v84, 0x3f763a35, v145
	v_fma_f32 v75, 0x3ee437d1, v119, -v75
	v_mul_f32_e32 v235, 0xbf7ee86f, v176
	v_mul_f32_e32 v176, 0xbf06c442, v176
	v_fmamk_f32 v73, v119, 0x3f6eb680, v245
	v_fmamk_f32 v64, v123, 0xbe8c1d8e, v84
	v_mul_f32_e32 v237, 0x3f4c4adb, v177
	v_mul_f32_e32 v243, 0xbf763a35, v181
	v_mul_f32_e32 v179, 0x3f65296c, v179
	s_delay_alu instid0(VALU_DEP_4) | instskip(SKIP_4) | instid1(VALU_DEP_4)
	v_dual_mul_f32 v181, 0x3f7ee86f, v181 :: v_dual_add_f32 v62, v64, v62
	v_mul_f32_e32 v85, 0x3f763a35, v177
	v_mul_f32_e32 v177, 0x3f2c7751, v177
	v_fmac_f32_e32 v81, 0xbf1a4643, v118
	v_fmac_f32_e32 v83, 0xbf7ba420, v120
	v_fma_f32 v64, 0xbe8c1d8e, v122, -v85
	s_delay_alu instid0(VALU_DEP_1) | instskip(NEXT) | instid1(VALU_DEP_1)
	v_dual_add_f32 v63, v64, v63 :: v_dual_fmamk_f32 v64, v125, 0x3f3d2fb0, v86
	v_add_f32_e32 v62, v64, v62
	v_fma_f32 v64, 0x3f3d2fb0, v124, -v87
	v_fmac_f32_e32 v85, 0xbe8c1d8e, v122
	v_fmac_f32_e32 v87, 0x3f3d2fb0, v124
	s_delay_alu instid0(VALU_DEP_3) | instskip(NEXT) | instid1(VALU_DEP_1)
	v_dual_add_f32 v63, v64, v63 :: v_dual_fmamk_f32 v64, v127, 0x3f6eb680, v88
	v_add_f32_e32 v62, v64, v62
	v_fma_f32 v64, 0x3f6eb680, v126, -v89
	v_fmac_f32_e32 v89, 0x3f6eb680, v126
	s_delay_alu instid0(VALU_DEP_2) | instskip(NEXT) | instid1(VALU_DEP_1)
	v_dual_add_f32 v63, v64, v63 :: v_dual_fmamk_f32 v64, v130, 0x3dbcf732, v90
	v_add_f32_e32 v62, v64, v62
	v_fma_f32 v64, 0x3dbcf732, v129, -v91
	s_delay_alu instid0(VALU_DEP_1) | instskip(SKIP_1) | instid1(VALU_DEP_1)
	v_dual_fmac_f32 v91, 0x3dbcf732, v129 :: v_dual_add_f32 v64, v64, v63
	v_fmamk_f32 v63, v133, 0xbf59a7d5, v182
	v_add_f32_e32 v63, v63, v62
	v_fma_f32 v62, 0xbf59a7d5, v132, -v183
	v_fma_f32 v78, 0x3ee437d1, v142, -v78
	v_fmac_f32_e32 v183, 0xbf59a7d5, v132
	s_delay_alu instid0(VALU_DEP_3) | instskip(SKIP_1) | instid1(VALU_DEP_4)
	v_add_f32_e32 v62, v62, v64
	v_fmamk_f32 v64, v142, 0x3dbcf732, v184
	v_add_f32_e32 v78, v106, v78
	s_delay_alu instid0(VALU_DEP_2) | instskip(NEXT) | instid1(VALU_DEP_2)
	v_add_f32_e32 v64, v106, v64
	v_add_f32_e32 v78, v79, v78
	v_fma_f32 v79, 0xbf7ba420, v121, -v82
	s_delay_alu instid0(VALU_DEP_3) | instskip(NEXT) | instid1(VALU_DEP_2)
	v_add_f32_e32 v64, v65, v64
	v_dual_fmamk_f32 v65, v121, 0xbe8c1d8e, v186 :: v_dual_add_f32 v78, v79, v78
	v_fma_f32 v79, 0xbe8c1d8e, v123, -v84
	s_delay_alu instid0(VALU_DEP_2) | instskip(NEXT) | instid1(VALU_DEP_2)
	v_dual_add_f32 v64, v65, v64 :: v_dual_fmamk_f32 v65, v123, 0x3f6eb680, v187
	v_dual_add_f32 v78, v79, v78 :: v_dual_add_f32 v79, v105, v80
	v_fma_f32 v80, 0x3f3d2fb0, v125, -v86
	s_delay_alu instid0(VALU_DEP_3) | instskip(SKIP_1) | instid1(VALU_DEP_4)
	v_add_f32_e32 v64, v65, v64
	v_fma_f32 v65, 0x3dbcf732, v135, -v188
	v_add_f32_e32 v79, v81, v79
	s_delay_alu instid0(VALU_DEP_2) | instskip(NEXT) | instid1(VALU_DEP_2)
	v_add_f32_e32 v65, v105, v65
	v_add_f32_e32 v79, v83, v79
	v_mul_f32_e32 v83, 0xbf2c7751, v139
	s_delay_alu instid0(VALU_DEP_3) | instskip(NEXT) | instid1(VALU_DEP_3)
	v_dual_add_f32 v65, v66, v65 :: v_dual_fmamk_f32 v66, v125, 0x3ee437d1, v190
	v_dual_add_f32 v79, v85, v79 :: v_dual_add_f32 v78, v80, v78
	v_fma_f32 v80, 0x3f6eb680, v127, -v88
	s_delay_alu instid0(VALU_DEP_3) | instskip(NEXT) | instid1(VALU_DEP_3)
	v_dual_sub_f32 v83, v149, v83 :: v_dual_add_f32 v64, v66, v64
	v_add_f32_e32 v79, v87, v79
	v_fma_f32 v66, 0xbe8c1d8e, v120, -v191
	s_delay_alu instid0(VALU_DEP_4) | instskip(SKIP_4) | instid1(VALU_DEP_4)
	v_add_f32_e32 v78, v80, v78
	v_fma_f32 v80, 0x3dbcf732, v130, -v90
	v_fmac_f32_e32 v189, 0xbf7ba420, v118
	v_add_f32_e32 v79, v89, v79
	v_dual_add_f32 v65, v66, v65 :: v_dual_fmamk_f32 v66, v127, 0xbf59a7d5, v192
	v_add_f32_e32 v78, v80, v78
	s_delay_alu instid0(VALU_DEP_3) | instskip(SKIP_1) | instid1(VALU_DEP_4)
	v_add_f32_e32 v80, v91, v79
	v_fma_f32 v79, 0xbf59a7d5, v133, -v182
	v_add_f32_e32 v64, v66, v64
	v_fma_f32 v66, 0x3f6eb680, v122, -v193
	v_fmac_f32_e32 v193, 0x3f6eb680, v122
	s_delay_alu instid0(VALU_DEP_4) | instskip(NEXT) | instid1(VALU_DEP_3)
	v_add_f32_e32 v79, v79, v78
	v_dual_add_f32 v78, v183, v80 :: v_dual_add_f32 v65, v66, v65
	v_fmamk_f32 v66, v130, 0xbf1a4643, v194
	v_fma_f32 v82, 0x3dbcf732, v142, -v184
	v_mul_f32_e32 v86, 0x3f6eb680, v135
	s_delay_alu instid0(VALU_DEP_3) | instskip(SKIP_1) | instid1(VALU_DEP_4)
	v_add_f32_e32 v64, v66, v64
	v_fma_f32 v66, 0x3ee437d1, v124, -v195
	v_add_f32_e32 v91, v106, v82
	s_delay_alu instid0(VALU_DEP_4) | instskip(NEXT) | instid1(VALU_DEP_3)
	v_dual_mul_f32 v85, 0xbeb8f4ab, v139 :: v_dual_add_f32 v86, v86, v137
	v_dual_mul_f32 v84, 0x3f3d2fb0, v135 :: v_dual_add_f32 v65, v66, v65
	v_fma_f32 v66, 0xbf59a7d5, v126, -v196
	s_delay_alu instid0(VALU_DEP_3) | instskip(NEXT) | instid1(VALU_DEP_3)
	v_dual_sub_f32 v85, v141, v85 :: v_dual_add_f32 v82, v106, v83
	v_dual_add_f32 v84, v84, v146 :: v_dual_fmac_f32 v195, 0x3ee437d1, v124
	s_delay_alu instid0(VALU_DEP_3) | instskip(SKIP_2) | instid1(VALU_DEP_2)
	v_add_f32_e32 v65, v66, v65
	v_fma_f32 v66, 0xbf1a4643, v129, -v197
	v_fmac_f32_e32 v197, 0xbf1a4643, v129
	v_dual_add_f32 v66, v66, v65 :: v_dual_fmamk_f32 v65, v133, 0x3f3d2fb0, v198
	s_delay_alu instid0(VALU_DEP_1) | instskip(SKIP_1) | instid1(VALU_DEP_1)
	v_add_f32_e32 v65, v65, v64
	v_fma_f32 v64, 0x3f3d2fb0, v132, -v199
	v_dual_fmac_f32 v199, 0x3f3d2fb0, v132 :: v_dual_add_f32 v64, v64, v66
	v_dual_fmamk_f32 v66, v142, 0xbe8c1d8e, v76 :: v_dual_fmac_f32 v191, 0xbe8c1d8e, v120
	s_delay_alu instid0(VALU_DEP_1) | instskip(NEXT) | instid1(VALU_DEP_1)
	v_add_f32_e32 v66, v106, v66
	v_dual_add_f32 v66, v67, v66 :: v_dual_fmamk_f32 v67, v121, 0x3f3d2fb0, v200
	s_delay_alu instid0(VALU_DEP_1) | instskip(SKIP_1) | instid1(VALU_DEP_1)
	v_add_f32_e32 v66, v67, v66
	v_fmamk_f32 v67, v123, 0x3ee437d1, v201
	v_add_f32_e32 v66, v67, v66
	v_fma_f32 v67, 0xbe8c1d8e, v135, -v202
	s_delay_alu instid0(VALU_DEP_1) | instskip(NEXT) | instid1(VALU_DEP_1)
	v_add_f32_e32 v67, v105, v67
	v_dual_add_f32 v67, v68, v67 :: v_dual_fmamk_f32 v68, v125, 0xbf7ba420, v204
	s_delay_alu instid0(VALU_DEP_1) | instskip(SKIP_1) | instid1(VALU_DEP_1)
	v_add_f32_e32 v66, v68, v66
	v_fma_f32 v68, 0x3f3d2fb0, v120, -v205
	v_dual_add_f32 v67, v68, v67 :: v_dual_fmamk_f32 v68, v127, 0x3dbcf732, v206
	s_delay_alu instid0(VALU_DEP_1) | instskip(SKIP_3) | instid1(VALU_DEP_3)
	v_add_f32_e32 v66, v68, v66
	v_fma_f32 v68, 0x3ee437d1, v122, -v207
	v_fmac_f32_e32 v203, 0xbf59a7d5, v118
	v_fmac_f32_e32 v207, 0x3ee437d1, v122
	v_dual_add_f32 v67, v68, v67 :: v_dual_fmamk_f32 v68, v130, 0x3f6eb680, v208
	s_delay_alu instid0(VALU_DEP_1) | instskip(SKIP_2) | instid1(VALU_DEP_2)
	v_add_f32_e32 v66, v68, v66
	v_fma_f32 v68, 0xbf7ba420, v124, -v209
	v_fmac_f32_e32 v209, 0xbf7ba420, v124
	v_add_f32_e32 v67, v68, v67
	v_fma_f32 v68, 0x3dbcf732, v126, -v210
	s_delay_alu instid0(VALU_DEP_1) | instskip(SKIP_2) | instid1(VALU_DEP_2)
	v_dual_fmac_f32 v210, 0x3dbcf732, v126 :: v_dual_add_f32 v67, v68, v67
	v_fma_f32 v68, 0x3f6eb680, v129, -v211
	v_fmac_f32_e32 v211, 0x3f6eb680, v129
	v_dual_fmac_f32 v205, 0x3f3d2fb0, v120 :: v_dual_add_f32 v68, v68, v67
	v_fmamk_f32 v67, v133, 0xbf1a4643, v212
	s_delay_alu instid0(VALU_DEP_1) | instskip(SKIP_3) | instid1(VALU_DEP_3)
	v_add_f32_e32 v67, v67, v66
	v_fma_f32 v66, 0xbf1a4643, v132, -v213
	v_fmac_f32_e32 v213, 0xbf1a4643, v132
	v_fmac_f32_e32 v196, 0xbf59a7d5, v126
	v_add_f32_e32 v66, v66, v68
	v_fmamk_f32 v68, v142, 0xbf1a4643, v214
	s_delay_alu instid0(VALU_DEP_1) | instskip(NEXT) | instid1(VALU_DEP_1)
	v_add_f32_e32 v68, v106, v68
	v_add_f32_e32 v68, v69, v68
	v_fmamk_f32 v69, v121, 0x3f6eb680, v216
	s_delay_alu instid0(VALU_DEP_1) | instskip(NEXT) | instid1(VALU_DEP_1)
	v_dual_add_f32 v68, v69, v68 :: v_dual_fmamk_f32 v69, v123, 0xbf59a7d5, v217
	v_add_f32_e32 v68, v69, v68
	v_fma_f32 v69, 0xbf1a4643, v135, -v218
	s_delay_alu instid0(VALU_DEP_1) | instskip(SKIP_1) | instid1(VALU_DEP_2)
	v_add_f32_e32 v69, v105, v69
	v_fma_f32 v76, 0xbe8c1d8e, v142, -v76
	v_dual_add_f32 v69, v70, v69 :: v_dual_fmamk_f32 v70, v125, 0x3dbcf732, v220
	s_delay_alu instid0(VALU_DEP_2) | instskip(NEXT) | instid1(VALU_DEP_2)
	v_add_f32_e32 v76, v106, v76
	v_add_f32_e32 v68, v70, v68
	v_fma_f32 v70, 0x3f6eb680, v120, -v221
	s_delay_alu instid0(VALU_DEP_3) | instskip(SKIP_2) | instid1(VALU_DEP_4)
	v_add_f32_e32 v76, v77, v76
	v_fma_f32 v77, 0x3f3d2fb0, v121, -v200
	v_fma_f32 v200, 0x3ee437d1, v123, -v201
	v_dual_add_f32 v69, v70, v69 :: v_dual_fmamk_f32 v70, v127, 0x3f3d2fb0, v222
	s_delay_alu instid0(VALU_DEP_3) | instskip(NEXT) | instid1(VALU_DEP_2)
	v_add_f32_e32 v76, v77, v76
	v_add_f32_e32 v68, v70, v68
	v_fma_f32 v70, 0xbf59a7d5, v122, -v223
	v_fmac_f32_e32 v223, 0xbf59a7d5, v122
	s_delay_alu instid0(VALU_DEP_2) | instskip(SKIP_1) | instid1(VALU_DEP_1)
	v_add_f32_e32 v69, v70, v69
	v_fmamk_f32 v70, v130, 0xbf7ba420, v224
	v_add_f32_e32 v68, v70, v68
	v_fma_f32 v70, 0x3dbcf732, v124, -v225
	v_fmac_f32_e32 v225, 0x3dbcf732, v124
	s_delay_alu instid0(VALU_DEP_2) | instskip(SKIP_1) | instid1(VALU_DEP_1)
	v_add_f32_e32 v69, v70, v69
	v_fma_f32 v70, 0x3f3d2fb0, v126, -v226
	v_add_f32_e32 v69, v70, v69
	v_fma_f32 v70, 0xbf7ba420, v129, -v227
	v_fmac_f32_e32 v227, 0xbf7ba420, v129
	s_delay_alu instid0(VALU_DEP_2) | instskip(NEXT) | instid1(VALU_DEP_1)
	v_dual_add_f32 v70, v70, v69 :: v_dual_fmamk_f32 v69, v133, 0x3ee437d1, v228
	v_add_f32_e32 v69, v69, v68
	v_fma_f32 v68, 0x3ee437d1, v132, -v229
	v_fmac_f32_e32 v202, 0xbe8c1d8e, v135
	s_delay_alu instid0(VALU_DEP_2) | instskip(NEXT) | instid1(VALU_DEP_2)
	v_dual_fmac_f32 v229, 0x3ee437d1, v132 :: v_dual_add_f32 v68, v68, v70
	v_dual_fmamk_f32 v70, v142, 0xbf59a7d5, v74 :: v_dual_add_f32 v77, v105, v202
	v_mul_f32_e32 v178, 0xbf4c4adb, v178
	s_delay_alu instid0(VALU_DEP_2) | instskip(NEXT) | instid1(VALU_DEP_3)
	v_dual_fmac_f32 v221, 0x3f6eb680, v120 :: v_dual_add_f32 v70, v106, v70
	v_dual_add_f32 v77, v203, v77 :: v_dual_mul_f32 v180, 0xbf763a35, v180
	s_delay_alu instid0(VALU_DEP_2) | instskip(NEXT) | instid1(VALU_DEP_2)
	v_dual_add_f32 v70, v71, v70 :: v_dual_fmamk_f32 v71, v121, 0x3dbcf732, v230
	v_dual_add_f32 v77, v205, v77 :: v_dual_mul_f32 v252, 0x3f7ee86f, v166
	s_delay_alu instid0(VALU_DEP_2) | instskip(SKIP_1) | instid1(VALU_DEP_3)
	v_add_f32_e32 v70, v71, v70
	v_fmamk_f32 v71, v123, 0xbf1a4643, v231
	v_add_f32_e32 v77, v207, v77
	s_delay_alu instid0(VALU_DEP_2) | instskip(SKIP_1) | instid1(VALU_DEP_3)
	v_add_f32_e32 v70, v71, v70
	v_fma_f32 v71, 0xbf59a7d5, v135, -v232
	v_dual_add_f32 v77, v209, v77 :: v_dual_add_f32 v76, v200, v76
	v_fma_f32 v200, 0xbf7ba420, v125, -v204
	s_delay_alu instid0(VALU_DEP_3) | instskip(NEXT) | instid1(VALU_DEP_2)
	v_add_f32_e32 v71, v105, v71
	v_dual_add_f32 v77, v210, v77 :: v_dual_add_f32 v76, v200, v76
	v_fma_f32 v200, 0x3dbcf732, v127, -v206
	s_delay_alu instid0(VALU_DEP_3) | instskip(NEXT) | instid1(VALU_DEP_2)
	v_dual_add_f32 v71, v72, v71 :: v_dual_fmamk_f32 v72, v125, 0x3f6eb680, v234
	v_add_f32_e32 v76, v200, v76
	v_fma_f32 v200, 0x3f6eb680, v130, -v208
	s_delay_alu instid0(VALU_DEP_3)
	v_add_f32_e32 v70, v72, v70
	v_fma_f32 v72, 0x3dbcf732, v120, -v235
	v_fmac_f32_e32 v233, 0x3ee437d1, v118
	v_mul_f32_e32 v242, 0xbf763a35, v166
	v_fmac_f32_e32 v235, 0x3dbcf732, v120
	v_add_f32_e32 v76, v200, v76
	v_dual_add_f32 v71, v72, v71 :: v_dual_fmamk_f32 v72, v127, 0xbf7ba420, v236
	v_add_f32_e32 v200, v211, v77
	v_fma_f32 v77, 0xbf1a4643, v133, -v212
	s_delay_alu instid0(VALU_DEP_3) | instskip(SKIP_4) | instid1(VALU_DEP_4)
	v_add_f32_e32 v70, v72, v70
	v_fma_f32 v72, 0xbf1a4643, v122, -v237
	v_fmac_f32_e32 v237, 0xbf1a4643, v122
	v_mul_f32_e32 v246, 0xbf06c442, v136
	v_add_f32_e32 v77, v77, v76
	v_dual_add_f32 v76, v213, v200 :: v_dual_add_f32 v71, v72, v71
	v_fmamk_f32 v72, v130, 0x3f3d2fb0, v238
	s_delay_alu instid0(VALU_DEP_1) | instskip(SKIP_2) | instid1(VALU_DEP_2)
	v_add_f32_e32 v70, v72, v70
	v_fma_f32 v72, 0x3f6eb680, v124, -v239
	v_fmac_f32_e32 v239, 0x3f6eb680, v124
	v_add_f32_e32 v71, v72, v71
	v_fma_f32 v72, 0xbf7ba420, v126, -v240
	s_delay_alu instid0(VALU_DEP_1) | instskip(SKIP_1) | instid1(VALU_DEP_1)
	v_add_f32_e32 v71, v72, v71
	v_fma_f32 v72, 0x3f3d2fb0, v129, -v241
	v_dual_fmac_f32 v241, 0x3f3d2fb0, v129 :: v_dual_add_f32 v72, v72, v71
	v_fmamk_f32 v71, v133, 0xbe8c1d8e, v242
	s_delay_alu instid0(VALU_DEP_1) | instskip(SKIP_4) | instid1(VALU_DEP_4)
	v_add_f32_e32 v71, v71, v70
	v_fma_f32 v70, 0xbe8c1d8e, v132, -v243
	v_fmac_f32_e32 v243, 0xbe8c1d8e, v132
	v_fma_f32 v81, 0xbf1a4643, v142, -v214
	v_fmac_f32_e32 v188, 0x3dbcf732, v135
	v_add_f32_e32 v70, v70, v72
	v_fmamk_f32 v72, v142, 0xbf7ba420, v244
	s_delay_alu instid0(VALU_DEP_4) | instskip(NEXT) | instid1(VALU_DEP_2)
	v_add_f32_e32 v89, v106, v81
	v_dual_add_f32 v81, v105, v86 :: v_dual_add_f32 v72, v106, v72
	s_delay_alu instid0(VALU_DEP_1) | instskip(SKIP_1) | instid1(VALU_DEP_1)
	v_add_f32_e32 v72, v73, v72
	v_fmamk_f32 v73, v121, 0xbf59a7d5, v246
	v_dual_add_f32 v72, v73, v72 :: v_dual_fmamk_f32 v73, v123, 0x3f3d2fb0, v247
	s_delay_alu instid0(VALU_DEP_1) | instskip(SKIP_3) | instid1(VALU_DEP_3)
	v_add_f32_e32 v72, v73, v72
	v_fma_f32 v73, 0xbf7ba420, v135, -v173
	v_fmac_f32_e32 v173, 0xbf7ba420, v135
	v_add_f32_e32 v83, v105, v84
	v_dual_mul_f32 v84, 0xbf2c7751, v128 :: v_dual_add_f32 v73, v105, v73
	s_delay_alu instid0(VALU_DEP_3) | instskip(NEXT) | instid1(VALU_DEP_2)
	v_add_f32_e32 v88, v105, v173
	v_dual_add_f32 v73, v248, v73 :: v_dual_mul_f32 v248, 0xbf4c4adb, v152
	s_delay_alu instid0(VALU_DEP_1) | instskip(NEXT) | instid1(VALU_DEP_1)
	v_fmamk_f32 v249, v125, 0xbf1a4643, v248
	v_add_f32_e32 v72, v249, v72
	v_fma_f32 v249, 0xbf59a7d5, v120, -v176
	v_fmac_f32_e32 v175, 0x3f6eb680, v118
	s_delay_alu instid0(VALU_DEP_2) | instskip(SKIP_2) | instid1(VALU_DEP_2)
	v_add_f32_e32 v73, v249, v73
	v_fma_f32 v249, 0x3f3d2fb0, v122, -v177
	v_fmac_f32_e32 v177, 0x3f3d2fb0, v122
	v_dual_fmac_f32 v226, 0x3f3d2fb0, v126 :: v_dual_add_f32 v73, v249, v73
	v_fma_f32 v74, 0xbf59a7d5, v142, -v74
	s_delay_alu instid0(VALU_DEP_1) | instskip(NEXT) | instid1(VALU_DEP_1)
	v_dual_mul_f32 v249, 0x3f65296c, v156 :: v_dual_add_f32 v74, v106, v74
	v_fmamk_f32 v250, v127, 0x3ee437d1, v249
	s_delay_alu instid0(VALU_DEP_2) | instskip(NEXT) | instid1(VALU_DEP_2)
	v_add_f32_e32 v74, v75, v74
	v_add_f32_e32 v72, v250, v72
	v_fma_f32 v250, 0xbf1a4643, v124, -v178
	s_delay_alu instid0(VALU_DEP_1) | instskip(SKIP_4) | instid1(VALU_DEP_4)
	v_add_f32_e32 v73, v250, v73
	v_fma_f32 v250, 0x3ee437d1, v126, -v179
	v_fma_f32 v75, 0x3dbcf732, v121, -v230
	;; [unrolled: 1-line block ×3, first 2 shown]
	v_fmac_f32_e32 v179, 0x3ee437d1, v126
	v_add_f32_e32 v73, v250, v73
	v_mul_f32_e32 v250, 0xbf763a35, v161
	v_add_f32_e32 v74, v75, v74
	v_fma_f32 v75, 0xbf1a4643, v123, -v231
	s_delay_alu instid0(VALU_DEP_1) | instskip(SKIP_1) | instid1(VALU_DEP_2)
	v_dual_fmamk_f32 v251, v130, 0xbe8c1d8e, v250 :: v_dual_add_f32 v74, v75, v74
	v_fma_f32 v75, 0x3f6eb680, v125, -v234
	v_add_f32_e32 v72, v251, v72
	v_fma_f32 v251, 0xbe8c1d8e, v129, -v180
	v_fmac_f32_e32 v180, 0xbe8c1d8e, v129
	s_delay_alu instid0(VALU_DEP_4) | instskip(NEXT) | instid1(VALU_DEP_3)
	v_add_f32_e32 v74, v75, v74
	v_add_f32_e32 v251, v251, v73
	s_delay_alu instid0(VALU_DEP_2) | instskip(SKIP_1) | instid1(VALU_DEP_2)
	v_dual_fmamk_f32 v73, v133, 0x3dbcf732, v252 :: v_dual_add_f32 v74, v230, v74
	v_fma_f32 v230, 0x3f3d2fb0, v130, -v238
	v_dual_add_f32 v73, v73, v72 :: v_dual_fmac_f32 v232, 0xbf59a7d5, v135
	s_delay_alu instid0(VALU_DEP_2) | instskip(SKIP_1) | instid1(VALU_DEP_3)
	v_add_f32_e32 v74, v230, v74
	v_fma_f32 v72, 0x3dbcf732, v132, -v181
	v_dual_add_f32 v75, v105, v232 :: v_dual_fmac_f32 v240, 0xbf7ba420, v126
	s_delay_alu instid0(VALU_DEP_2) | instskip(NEXT) | instid1(VALU_DEP_2)
	v_add_f32_e32 v72, v72, v251
	v_add_f32_e32 v75, v233, v75
	s_delay_alu instid0(VALU_DEP_1) | instskip(NEXT) | instid1(VALU_DEP_1)
	v_add_f32_e32 v75, v235, v75
	v_add_f32_e32 v75, v237, v75
	s_delay_alu instid0(VALU_DEP_1) | instskip(NEXT) | instid1(VALU_DEP_1)
	v_add_f32_e32 v75, v239, v75
	v_add_f32_e32 v75, v240, v75
	s_delay_alu instid0(VALU_DEP_1) | instskip(SKIP_1) | instid1(VALU_DEP_1)
	v_add_f32_e32 v230, v241, v75
	v_fma_f32 v75, 0xbe8c1d8e, v133, -v242
	v_add_f32_e32 v75, v75, v74
	v_fma_f32 v80, 0xbf7ba420, v142, -v244
	v_dual_fmac_f32 v218, 0xbf1a4643, v135 :: v_dual_add_f32 v135, v105, v188
	s_delay_alu instid0(VALU_DEP_2) | instskip(SKIP_2) | instid1(VALU_DEP_4)
	v_dual_add_f32 v74, v243, v230 :: v_dual_add_f32 v87, v106, v80
	v_dual_add_f32 v80, v106, v85 :: v_dual_mul_f32 v85, 0x3f3d2fb0, v118
	v_sub_f32_e32 v84, v143, v84
	v_add_f32_e32 v90, v105, v218
	v_dual_fmac_f32 v219, 0xbe8c1d8e, v118 :: v_dual_add_f32 v88, v175, v88
	s_delay_alu instid0(VALU_DEP_3) | instskip(SKIP_1) | instid1(VALU_DEP_2)
	v_dual_add_f32 v85, v85, v138 :: v_dual_add_f32 v80, v84, v80
	v_fma_f32 v105, 0x3dbcf732, v133, -v252
	v_add_f32_e32 v81, v85, v81
	v_mul_f32_e32 v85, 0x3ee437d1, v120
	s_delay_alu instid0(VALU_DEP_1) | instskip(NEXT) | instid1(VALU_DEP_1)
	v_dual_mul_f32 v84, 0xbf65296c, v136 :: v_dual_add_f32 v85, v85, v147
	v_dual_sub_f32 v84, v150, v84 :: v_dual_add_f32 v81, v85, v81
	s_delay_alu instid0(VALU_DEP_1) | instskip(NEXT) | instid1(VALU_DEP_1)
	v_dual_add_f32 v80, v84, v80 :: v_dual_mul_f32 v85, 0x3dbcf732, v122
	v_add_f32_e32 v85, v85, v153
	s_delay_alu instid0(VALU_DEP_1) | instskip(SKIP_1) | instid1(VALU_DEP_1)
	v_add_f32_e32 v81, v85, v81
	v_mul_f32_e32 v85, 0xbe8c1d8e, v124
	v_dual_mul_f32 v84, 0xbf7ee86f, v145 :: v_dual_add_f32 v85, v85, v159
	s_delay_alu instid0(VALU_DEP_1) | instskip(NEXT) | instid1(VALU_DEP_2)
	v_sub_f32_e32 v84, v157, v84
	v_add_f32_e32 v81, v85, v81
	v_mul_f32_e32 v85, 0xbf1a4643, v126
	s_delay_alu instid0(VALU_DEP_1) | instskip(NEXT) | instid1(VALU_DEP_1)
	v_add_f32_e32 v85, v85, v164
	v_dual_add_f32 v80, v84, v80 :: v_dual_add_f32 v81, v85, v81
	v_mul_f32_e32 v85, 0xbe3c28d5, v166
	s_delay_alu instid0(VALU_DEP_1) | instskip(NEXT) | instid1(VALU_DEP_1)
	v_dual_mul_f32 v84, 0xbf763a35, v152 :: v_dual_sub_f32 v85, v174, v85
	v_sub_f32_e32 v84, v162, v84
	s_delay_alu instid0(VALU_DEP_1) | instskip(SKIP_1) | instid1(VALU_DEP_1)
	v_add_f32_e32 v80, v84, v80
	v_mul_f32_e32 v84, 0xbf4c4adb, v156
	v_sub_f32_e32 v84, v167, v84
	s_delay_alu instid0(VALU_DEP_1) | instskip(SKIP_1) | instid1(VALU_DEP_1)
	v_add_f32_e32 v80, v84, v80
	v_mul_f32_e32 v84, 0xbf06c442, v161
	;; [unrolled: 4-line block ×3, first 2 shown]
	v_add_f32_e32 v84, v84, v170
	s_delay_alu instid0(VALU_DEP_1) | instskip(NEXT) | instid1(VALU_DEP_1)
	v_dual_add_f32 v84, v84, v81 :: v_dual_mul_f32 v81, 0xbf7ba420, v132
	v_add_f32_e32 v86, v81, v172
	v_add_f32_e32 v81, v85, v80
	v_mul_f32_e32 v85, 0x3dbcf732, v118
	s_delay_alu instid0(VALU_DEP_1) | instskip(NEXT) | instid1(VALU_DEP_1)
	v_add_f32_e32 v85, v85, v131
	v_add_f32_e32 v83, v85, v83
	v_mul_f32_e32 v85, 0xbf1a4643, v120
	s_delay_alu instid0(VALU_DEP_1) | instskip(NEXT) | instid1(VALU_DEP_1)
	v_add_f32_e32 v85, v85, v140
	v_add_f32_e32 v83, v85, v83
	v_mul_f32_e32 v85, 0xbf7ba420, v122
	s_delay_alu instid0(VALU_DEP_1) | instskip(NEXT) | instid1(VALU_DEP_1)
	v_add_f32_e32 v85, v85, v148
	v_dual_add_f32 v80, v86, v84 :: v_dual_add_f32 v83, v85, v83
	v_mul_f32_e32 v85, 0x3f65296c, v161
	s_delay_alu instid0(VALU_DEP_1) | instskip(NEXT) | instid1(VALU_DEP_1)
	v_dual_mul_f32 v84, 0xbf7ee86f, v128 :: v_dual_sub_f32 v85, v165, v85
	v_sub_f32_e32 v84, v134, v84
	s_delay_alu instid0(VALU_DEP_1) | instskip(SKIP_1) | instid1(VALU_DEP_1)
	v_add_f32_e32 v82, v84, v82
	v_mul_f32_e32 v84, 0xbf4c4adb, v136
	v_sub_f32_e32 v84, v144, v84
	s_delay_alu instid0(VALU_DEP_1) | instskip(SKIP_1) | instid1(VALU_DEP_1)
	v_add_f32_e32 v82, v84, v82
	v_mul_f32_e32 v84, 0xbe3c28d5, v145
	;; [unrolled: 4-line block ×5, first 2 shown]
	v_add_f32_e32 v84, v84, v154
	s_delay_alu instid0(VALU_DEP_1) | instskip(NEXT) | instid1(VALU_DEP_1)
	v_dual_add_f32 v83, v84, v83 :: v_dual_mul_f32 v84, 0xbe8c1d8e, v126
	v_add_f32_e32 v84, v84, v155
	v_add_f32_e32 v82, v85, v82
	v_mul_f32_e32 v85, 0x3eb8f4ab, v166
	s_delay_alu instid0(VALU_DEP_3) | instskip(NEXT) | instid1(VALU_DEP_1)
	v_dual_add_f32 v83, v84, v83 :: v_dual_mul_f32 v84, 0x3ee437d1, v129
	v_dual_sub_f32 v85, v169, v85 :: v_dual_add_f32 v84, v84, v160
	s_delay_alu instid0(VALU_DEP_1) | instskip(NEXT) | instid1(VALU_DEP_1)
	v_dual_add_f32 v84, v84, v83 :: v_dual_mul_f32 v83, 0x3f6eb680, v132
	v_dual_add_f32 v86, v83, v168 :: v_dual_add_f32 v83, v85, v82
	v_fma_f32 v85, 0xbe8c1d8e, v121, -v186
	s_delay_alu instid0(VALU_DEP_2) | instskip(SKIP_2) | instid1(VALU_DEP_2)
	v_add_f32_e32 v82, v86, v84
	v_fma_f32 v84, 0xbf7ba420, v119, -v185
	v_fma_f32 v86, 0xbf59a7d5, v127, -v192
	v_add_f32_e32 v84, v84, v91
	v_fma_f32 v91, 0x3f3d2fb0, v127, -v222
	s_delay_alu instid0(VALU_DEP_2) | instskip(SKIP_1) | instid1(VALU_DEP_1)
	v_add_f32_e32 v84, v85, v84
	v_fma_f32 v85, 0x3f6eb680, v123, -v187
	v_add_f32_e32 v84, v85, v84
	v_fma_f32 v85, 0x3ee437d1, v125, -v190
	s_delay_alu instid0(VALU_DEP_1) | instskip(NEXT) | instid1(VALU_DEP_1)
	v_add_f32_e32 v84, v85, v84
	v_dual_add_f32 v84, v86, v84 :: v_dual_add_f32 v85, v189, v135
	v_fma_f32 v86, 0xbf1a4643, v130, -v194
	s_delay_alu instid0(VALU_DEP_1) | instskip(NEXT) | instid1(VALU_DEP_1)
	v_dual_add_f32 v85, v191, v85 :: v_dual_add_f32 v84, v86, v84
	v_add_f32_e32 v85, v193, v85
	s_delay_alu instid0(VALU_DEP_1) | instskip(NEXT) | instid1(VALU_DEP_1)
	v_add_f32_e32 v85, v195, v85
	v_add_f32_e32 v85, v196, v85
	s_delay_alu instid0(VALU_DEP_1) | instskip(SKIP_1) | instid1(VALU_DEP_1)
	v_add_f32_e32 v86, v197, v85
	v_fma_f32 v85, 0x3f3d2fb0, v133, -v198
	v_dual_add_f32 v85, v85, v84 :: v_dual_add_f32 v84, v199, v86
	v_fma_f32 v86, 0xbe8c1d8e, v119, -v215
	s_delay_alu instid0(VALU_DEP_1) | instskip(SKIP_1) | instid1(VALU_DEP_1)
	v_add_f32_e32 v86, v86, v89
	v_fma_f32 v89, 0x3f6eb680, v121, -v216
	v_add_f32_e32 v86, v89, v86
	v_fma_f32 v89, 0xbf59a7d5, v123, -v217
	s_delay_alu instid0(VALU_DEP_1) | instskip(SKIP_2) | instid1(VALU_DEP_2)
	v_add_f32_e32 v86, v89, v86
	v_add_f32_e32 v89, v219, v90
	v_fma_f32 v90, 0x3dbcf732, v125, -v220
	v_add_f32_e32 v89, v221, v89
	s_delay_alu instid0(VALU_DEP_1) | instskip(NEXT) | instid1(VALU_DEP_1)
	v_add_f32_e32 v89, v223, v89
	v_add_f32_e32 v89, v225, v89
	s_delay_alu instid0(VALU_DEP_1) | instskip(SKIP_2) | instid1(VALU_DEP_3)
	v_add_f32_e32 v89, v226, v89
	v_add_f32_e32 v86, v90, v86
	v_fma_f32 v90, 0x3f6eb680, v119, -v245
	v_add_f32_e32 v89, v227, v89
	s_delay_alu instid0(VALU_DEP_2) | instskip(SKIP_3) | instid1(VALU_DEP_3)
	v_dual_add_f32 v86, v91, v86 :: v_dual_add_f32 v87, v90, v87
	v_fma_f32 v90, 0xbf59a7d5, v121, -v246
	v_fma_f32 v91, 0xbf7ba420, v130, -v224
	v_fmac_f32_e32 v181, 0x3dbcf732, v132
	v_add_f32_e32 v87, v90, v87
	v_fma_f32 v90, 0x3f3d2fb0, v123, -v247
	s_delay_alu instid0(VALU_DEP_1) | instskip(SKIP_1) | instid1(VALU_DEP_1)
	v_add_f32_e32 v87, v90, v87
	v_fma_f32 v90, 0xbf1a4643, v125, -v248
	v_add_f32_e32 v87, v90, v87
	v_fma_f32 v90, 0x3ee437d1, v127, -v249
	s_delay_alu instid0(VALU_DEP_1) | instskip(SKIP_1) | instid1(VALU_DEP_2)
	v_dual_fmac_f32 v176, 0xbf59a7d5, v120 :: v_dual_add_f32 v87, v90, v87
	v_fma_f32 v90, 0xbe8c1d8e, v130, -v250
	v_add_f32_e32 v88, v176, v88
	s_delay_alu instid0(VALU_DEP_2) | instskip(SKIP_4) | instid1(VALU_DEP_4)
	v_add_f32_e32 v90, v90, v87
	v_mul_lo_u16 v87, v110, 17
	v_add_f32_e32 v86, v91, v86
	v_fmac_f32_e32 v178, 0xbf1a4643, v124
	v_fma_f32 v91, 0x3ee437d1, v133, -v228
	v_dual_add_f32 v88, v177, v88 :: v_dual_and_b32 v87, 0xffff, v87
	s_delay_alu instid0(VALU_DEP_1) | instskip(NEXT) | instid1(VALU_DEP_3)
	v_lshl_add_u32 v106, v87, 3, v111
	v_dual_add_f32 v87, v91, v86 :: v_dual_add_f32 v86, v229, v89
	s_delay_alu instid0(VALU_DEP_3) | instskip(NEXT) | instid1(VALU_DEP_1)
	v_dual_add_f32 v89, v105, v90 :: v_dual_add_f32 v88, v178, v88
	v_add_f32_e32 v88, v179, v88
	s_delay_alu instid0(VALU_DEP_1) | instskip(NEXT) | instid1(VALU_DEP_1)
	v_add_f32_e32 v88, v180, v88
	v_add_f32_e32 v88, v181, v88
	ds_store_2addr_b64 v106, v[60:61], v[80:81] offset1:1
	ds_store_2addr_b64 v106, v[82:83], v[78:79] offset0:2 offset1:3
	ds_store_2addr_b64 v106, v[84:85], v[76:77] offset0:4 offset1:5
	;; [unrolled: 1-line block ×7, first 2 shown]
	ds_store_b64 v106, v[103:104] offset:128
.LBB0_17:
	s_wait_alu 0xfffe
	s_or_b32 exec_lo, exec_lo, s1
	v_add_nc_u32_e32 v68, 0x1000, v112
	v_add_nc_u32_e32 v60, 0x400, v112
	;; [unrolled: 1-line block ×6, first 2 shown]
	global_wb scope:SCOPE_SE
	s_wait_dscnt 0x0
	s_barrier_signal -1
	s_barrier_wait -1
	global_inv scope:SCOPE_SE
	ds_load_2addr_b64 v[64:67], v112 offset1:85
	ds_load_2addr_b64 v[60:63], v60 offset0:42 offset1:144
	ds_load_2addr_b64 v[84:87], v68 offset0:32 offset1:117
	ds_load_2addr_b64 v[72:75], v69 offset0:74 offset1:176
	ds_load_2addr_b64 v[80:83], v70 offset0:64 offset1:149
	ds_load_2addr_b64 v[76:79], v71 offset0:101 offset1:186
	ds_load_2addr_b64 v[68:71], v88 offset0:133 offset1:218
	ds_load_b64 v[88:89], v112 offset:10064
	s_and_saveexec_b32 s1, s0
	s_cbranch_execz .LBB0_19
; %bb.18:
	ds_load_b64 v[101:102], v112 offset:2040
	ds_load_b64 v[103:104], v112 offset:4216
	ds_load_b64 v[99:100], v112 offset:6392
	ds_load_b64 v[97:98], v112 offset:8568
	ds_load_b64 v[95:96], v112 offset:10744
.LBB0_19:
	s_wait_alu 0xfffe
	s_or_b32 exec_lo, exec_lo, s1
	s_wait_dscnt 0x5
	v_dual_mul_f32 v90, v25, v63 :: v_dual_mul_f32 v91, v27, v85
	v_mul_f32_e32 v25, v25, v62
	v_mul_f32_e32 v27, v27, v84
	global_wb scope:SCOPE_SE
	s_wait_dscnt 0x0
	v_dual_fmac_f32 v90, v24, v62 :: v_dual_fmac_f32 v91, v26, v84
	v_fma_f32 v24, v24, v63, -v25
	v_fma_f32 v25, v26, v85, -v27
	v_dual_mul_f32 v26, v15, v81 :: v_dual_mul_f32 v105, v13, v75
	v_mul_f32_e32 v13, v13, v74
	v_mul_f32_e32 v27, v29, v77
	s_barrier_signal -1
	s_delay_alu instid0(VALU_DEP_3)
	v_dual_fmac_f32 v26, v14, v80 :: v_dual_fmac_f32 v105, v12, v74
	v_mul_f32_e32 v74, v23, v83
	v_mul_f32_e32 v15, v15, v80
	v_fmac_f32_e32 v27, v28, v76
	s_barrier_wait -1
	global_inv scope:SCOPE_SE
	v_fmac_f32_e32 v74, v22, v82
	v_fma_f32 v63, v14, v81, -v15
	v_mul_f32_e32 v14, v19, v72
	v_fma_f32 v62, v12, v75, -v13
	v_dual_mul_f32 v12, v31, v86 :: v_dual_mul_f32 v29, v29, v76
	s_delay_alu instid0(VALU_DEP_4) | instskip(SKIP_2) | instid1(VALU_DEP_4)
	v_sub_f32_e32 v15, v24, v63
	v_mul_f32_e32 v13, v21, v68
	v_mul_f32_e32 v75, v19, v73
	v_fma_f32 v28, v28, v77, -v29
	v_mul_f32_e32 v29, v31, v87
	v_mul_f32_e32 v31, v21, v69
	s_delay_alu instid0(VALU_DEP_4) | instskip(SKIP_2) | instid1(VALU_DEP_4)
	v_fmac_f32_e32 v75, v18, v72
	v_fma_f32 v72, v18, v73, -v14
	v_dual_mul_f32 v73, v9, v71 :: v_dual_add_f32 v14, v64, v90
	v_fmac_f32_e32 v31, v20, v68
	v_fma_f32 v68, v20, v69, -v13
	v_mul_f32_e32 v69, v17, v79
	v_mul_f32_e32 v13, v17, v78
	v_add_f32_e32 v20, v65, v24
	v_sub_f32_e32 v17, v25, v62
	v_add_f32_e32 v18, v90, v26
	v_fmac_f32_e32 v69, v16, v78
	v_fma_f32 v77, v16, v79, -v13
	v_dual_mul_f32 v13, v9, v70 :: v_dual_mul_f32 v78, v11, v89
	v_dual_mul_f32 v11, v11, v88 :: v_dual_sub_f32 v16, v26, v105
	s_delay_alu instid0(VALU_DEP_2) | instskip(NEXT) | instid1(VALU_DEP_2)
	v_dual_add_f32 v21, v25, v62 :: v_dual_fmac_f32 v78, v10, v88
	v_fma_f32 v11, v10, v89, -v11
	v_sub_f32_e32 v10, v91, v90
	v_fmac_f32_e32 v73, v8, v70
	v_fma_f32 v8, v8, v71, -v13
	v_add_f32_e32 v13, v14, v91
	s_delay_alu instid0(VALU_DEP_2) | instskip(NEXT) | instid1(VALU_DEP_1)
	v_dual_sub_f32 v14, v90, v91 :: v_dual_sub_f32 v71, v11, v8
	v_add_f32_e32 v19, v14, v16
	v_fma_f32 v14, -0.5, v18, v64
	s_delay_alu instid0(VALU_DEP_1) | instskip(SKIP_1) | instid1(VALU_DEP_2)
	v_fmamk_f32 v18, v17, 0x3f737871, v14
	v_fmac_f32_e32 v14, 0xbf737871, v17
	v_dual_add_f32 v13, v13, v105 :: v_dual_fmac_f32 v18, 0xbf167918, v15
	s_delay_alu instid0(VALU_DEP_2) | instskip(SKIP_2) | instid1(VALU_DEP_4)
	v_dual_fmac_f32 v14, 0x3f167918, v15 :: v_dual_fmac_f32 v29, v30, v86
	v_fma_f32 v30, v30, v87, -v12
	v_mul_f32_e32 v12, v23, v82
	v_add_f32_e32 v16, v13, v26
	v_sub_f32_e32 v13, v105, v26
	v_sub_f32_e32 v23, v91, v105
	s_delay_alu instid0(VALU_DEP_4) | instskip(SKIP_1) | instid1(VALU_DEP_4)
	v_fma_f32 v76, v22, v83, -v12
	v_add_f32_e32 v12, v91, v105
	v_add_f32_e32 v22, v10, v13
	v_dual_add_f32 v13, v20, v25 :: v_dual_sub_f32 v20, v63, v62
	v_sub_f32_e32 v70, v75, v73
	s_delay_alu instid0(VALU_DEP_4) | instskip(NEXT) | instid1(VALU_DEP_4)
	v_fma_f32 v9, -0.5, v12, v64
	v_fmac_f32_e32 v14, 0x3e9e377a, v22
	v_fmac_f32_e32 v18, 0x3e9e377a, v22
	v_add_f32_e32 v64, v27, v74
	s_delay_alu instid0(VALU_DEP_4) | instskip(SKIP_1) | instid1(VALU_DEP_2)
	v_fmamk_f32 v12, v15, 0xbf737871, v9
	v_fmac_f32_e32 v9, 0x3f737871, v15
	v_dual_add_f32 v15, v24, v63 :: v_dual_fmac_f32 v12, 0xbf167918, v17
	s_delay_alu instid0(VALU_DEP_2) | instskip(NEXT) | instid1(VALU_DEP_2)
	v_fmac_f32_e32 v9, 0x3f167918, v17
	v_dual_add_f32 v17, v13, v62 :: v_dual_fmac_f32 v12, 0x3e9e377a, v19
	s_delay_alu instid0(VALU_DEP_2) | instskip(SKIP_1) | instid1(VALU_DEP_1)
	v_fmac_f32_e32 v9, 0x3e9e377a, v19
	v_sub_f32_e32 v19, v24, v25
	v_add_f32_e32 v22, v19, v20
	v_sub_f32_e32 v20, v25, v24
	v_sub_f32_e32 v24, v62, v63
	v_fma_f32 v10, -0.5, v21, v65
	v_sub_f32_e32 v21, v90, v26
	v_dual_sub_f32 v62, v30, v68 :: v_dual_add_f32 v25, v29, v31
	s_delay_alu instid0(VALU_DEP_4) | instskip(NEXT) | instid1(VALU_DEP_3)
	v_add_f32_e32 v24, v20, v24
	v_dual_add_f32 v26, v66, v27 :: v_dual_fmamk_f32 v13, v21, 0x3f737871, v10
	v_fmac_f32_e32 v10, 0xbf737871, v21
	s_delay_alu instid0(VALU_DEP_4)
	v_fma_f32 v20, -0.5, v25, v66
	v_sub_f32_e32 v25, v28, v76
	v_fma_f32 v66, -0.5, v64, v66
	v_fmac_f32_e32 v13, 0x3f167918, v23
	v_fmac_f32_e32 v10, 0xbf167918, v23
	v_add_f32_e32 v17, v17, v63
	v_dual_sub_f32 v63, v74, v31 :: v_dual_add_f32 v64, v67, v28
	s_delay_alu instid0(VALU_DEP_4) | instskip(NEXT) | instid1(VALU_DEP_4)
	v_fmac_f32_e32 v13, 0x3e9e377a, v22
	v_fmac_f32_e32 v10, 0x3e9e377a, v22
	v_fmamk_f32 v22, v25, 0xbf737871, v20
	v_fma_f32 v15, -0.5, v15, v65
	v_fmac_f32_e32 v20, 0x3f737871, v25
	s_delay_alu instid0(VALU_DEP_3) | instskip(NEXT) | instid1(VALU_DEP_3)
	v_fmac_f32_e32 v22, 0xbf167918, v62
	v_fmamk_f32 v19, v23, 0xbf737871, v15
	v_fmac_f32_e32 v15, 0x3f737871, v23
	v_add_f32_e32 v23, v26, v29
	v_sub_f32_e32 v26, v27, v29
	s_delay_alu instid0(VALU_DEP_4) | instskip(NEXT) | instid1(VALU_DEP_4)
	v_dual_fmac_f32 v20, 0x3f167918, v62 :: v_dual_fmac_f32 v19, 0x3f167918, v21
	v_fmac_f32_e32 v15, 0xbf167918, v21
	s_delay_alu instid0(VALU_DEP_4) | instskip(NEXT) | instid1(VALU_DEP_4)
	v_add_f32_e32 v21, v23, v31
	v_add_f32_e32 v23, v26, v63
	v_fmamk_f32 v26, v62, 0x3f737871, v66
	v_fmac_f32_e32 v19, 0x3e9e377a, v24
	v_fmac_f32_e32 v66, 0xbf737871, v62
	v_add_f32_e32 v62, v64, v30
	v_sub_f32_e32 v63, v31, v74
	v_sub_f32_e32 v64, v27, v74
	v_fmac_f32_e32 v26, 0xbf167918, v25
	s_delay_alu instid0(VALU_DEP_4)
	v_dual_fmac_f32 v66, 0x3f167918, v25 :: v_dual_add_f32 v25, v62, v68
	v_sub_f32_e32 v62, v76, v68
	v_dual_fmac_f32 v15, 0x3e9e377a, v24 :: v_dual_add_f32 v24, v21, v74
	v_sub_f32_e32 v21, v29, v27
	v_sub_f32_e32 v29, v29, v31
	;; [unrolled: 1-line block ×3, first 2 shown]
	v_add_f32_e32 v27, v28, v76
	s_delay_alu instid0(VALU_DEP_4) | instskip(NEXT) | instid1(VALU_DEP_3)
	v_dual_sub_f32 v28, v30, v28 :: v_dual_add_f32 v63, v21, v63
	v_add_f32_e32 v31, v31, v62
	v_dual_add_f32 v62, v75, v73 :: v_dual_add_f32 v65, v30, v68
	s_delay_alu instid0(VALU_DEP_3) | instskip(SKIP_4) | instid1(VALU_DEP_4)
	v_fmac_f32_e32 v26, 0x3e9e377a, v63
	v_sub_f32_e32 v30, v68, v76
	v_fmac_f32_e32 v22, 0x3e9e377a, v23
	v_fmac_f32_e32 v20, 0x3e9e377a, v23
	v_fma_f32 v21, -0.5, v65, v67
	v_dual_fmac_f32 v66, 0x3e9e377a, v63 :: v_dual_add_f32 v63, v28, v30
	v_fma_f32 v28, -0.5, v62, v60
	v_sub_f32_e32 v65, v77, v11
	s_delay_alu instid0(VALU_DEP_4) | instskip(SKIP_2) | instid1(VALU_DEP_4)
	v_dual_fmamk_f32 v23, v64, 0x3f737871, v21 :: v_dual_sub_f32 v62, v69, v75
	v_fmac_f32_e32 v21, 0xbf737871, v64
	v_dual_fmac_f32 v67, -0.5, v27 :: v_dual_add_f32 v68, v69, v78
	v_fmamk_f32 v30, v65, 0xbf737871, v28
	v_fmac_f32_e32 v28, 0x3f737871, v65
	v_fmac_f32_e32 v23, 0x3f167918, v29
	;; [unrolled: 1-line block ×3, first 2 shown]
	s_delay_alu instid0(VALU_DEP_2) | instskip(NEXT) | instid1(VALU_DEP_2)
	v_fmac_f32_e32 v23, 0x3e9e377a, v31
	v_fmac_f32_e32 v21, 0x3e9e377a, v31
	v_sub_f32_e32 v31, v72, v8
	v_fmamk_f32 v27, v29, 0xbf737871, v67
	v_fmac_f32_e32 v67, 0x3f737871, v29
	v_add_f32_e32 v25, v25, v76
	s_delay_alu instid0(VALU_DEP_4) | instskip(NEXT) | instid1(VALU_DEP_4)
	v_dual_add_f32 v29, v60, v69 :: v_dual_fmac_f32 v30, 0xbf167918, v31
	v_fmac_f32_e32 v27, 0x3f167918, v64
	s_delay_alu instid0(VALU_DEP_4) | instskip(SKIP_3) | instid1(VALU_DEP_4)
	v_dual_fmac_f32 v67, 0xbf167918, v64 :: v_dual_sub_f32 v64, v78, v73
	v_fmac_f32_e32 v28, 0x3f167918, v31
	v_fma_f32 v60, -0.5, v68, v60
	v_sub_f32_e32 v68, v73, v78
	v_add_f32_e32 v64, v62, v64
	s_delay_alu instid0(VALU_DEP_1) | instskip(SKIP_3) | instid1(VALU_DEP_2)
	v_fmac_f32_e32 v30, 0x3e9e377a, v64
	v_fmac_f32_e32 v28, 0x3e9e377a, v64
	v_fmamk_f32 v64, v31, 0x3f737871, v60
	v_dual_fmac_f32 v60, 0xbf737871, v31 :: v_dual_add_f32 v31, v61, v77
	v_fmac_f32_e32 v64, 0xbf167918, v65
	v_fmac_f32_e32 v67, 0x3e9e377a, v63
	s_delay_alu instid0(VALU_DEP_3) | instskip(SKIP_4) | instid1(VALU_DEP_3)
	v_fmac_f32_e32 v60, 0x3f167918, v65
	v_fmac_f32_e32 v27, 0x3e9e377a, v63
	v_sub_f32_e32 v63, v75, v69
	v_sub_f32_e32 v69, v69, v78
	v_add_f32_e32 v65, v31, v72
	v_dual_add_f32 v63, v63, v68 :: v_dual_add_f32 v68, v77, v11
	s_delay_alu instid0(VALU_DEP_1) | instskip(SKIP_1) | instid1(VALU_DEP_4)
	v_fmac_f32_e32 v64, 0x3e9e377a, v63
	v_add_f32_e32 v29, v29, v75
	v_dual_fmac_f32 v60, 0x3e9e377a, v63 :: v_dual_add_f32 v63, v65, v8
	s_delay_alu instid0(VALU_DEP_2) | instskip(NEXT) | instid1(VALU_DEP_1)
	v_add_f32_e32 v29, v29, v73
	v_dual_add_f32 v63, v63, v11 :: v_dual_add_f32 v62, v29, v78
	v_add_f32_e32 v29, v72, v8
	v_sub_f32_e32 v8, v8, v11
	s_delay_alu instid0(VALU_DEP_2) | instskip(SKIP_2) | instid1(VALU_DEP_3)
	v_fma_f32 v29, -0.5, v29, v61
	v_fmac_f32_e32 v61, -0.5, v68
	v_sub_f32_e32 v68, v77, v72
	v_dual_sub_f32 v72, v72, v77 :: v_dual_fmamk_f32 v31, v69, 0x3f737871, v29
	v_fmac_f32_e32 v29, 0xbf737871, v69
	s_delay_alu instid0(VALU_DEP_4) | instskip(NEXT) | instid1(VALU_DEP_4)
	v_fmamk_f32 v65, v70, 0xbf737871, v61
	v_dual_fmac_f32 v61, 0x3f737871, v70 :: v_dual_add_f32 v68, v68, v71
	s_delay_alu instid0(VALU_DEP_4) | instskip(NEXT) | instid1(VALU_DEP_4)
	v_fmac_f32_e32 v31, 0x3f167918, v70
	v_fmac_f32_e32 v29, 0xbf167918, v70
	s_delay_alu instid0(VALU_DEP_4) | instskip(NEXT) | instid1(VALU_DEP_4)
	v_dual_fmac_f32 v65, 0x3f167918, v69 :: v_dual_add_f32 v8, v72, v8
	v_fmac_f32_e32 v61, 0xbf167918, v69
	s_delay_alu instid0(VALU_DEP_4) | instskip(NEXT) | instid1(VALU_DEP_4)
	v_fmac_f32_e32 v31, 0x3e9e377a, v68
	v_fmac_f32_e32 v29, 0x3e9e377a, v68
	s_delay_alu instid0(VALU_DEP_4) | instskip(NEXT) | instid1(VALU_DEP_4)
	v_fmac_f32_e32 v65, 0x3e9e377a, v8
	v_fmac_f32_e32 v61, 0x3e9e377a, v8
	ds_store_2addr_b64 v116, v[16:17], v[12:13] offset1:17
	ds_store_2addr_b64 v116, v[18:19], v[14:15] offset0:34 offset1:51
	ds_store_b64 v116, v[9:10] offset:544
	ds_store_2addr_b64 v115, v[24:25], v[22:23] offset1:17
	ds_store_2addr_b64 v115, v[26:27], v[66:67] offset0:34 offset1:51
	ds_store_b64 v115, v[20:21] offset:544
	;; [unrolled: 3-line block ×3, first 2 shown]
	s_and_saveexec_b32 s1, s0
	s_cbranch_execz .LBB0_21
; %bb.20:
	v_dual_mul_f32 v8, v5, v103 :: v_dual_mul_f32 v11, v7, v100
	v_dual_mul_f32 v9, v3, v95 :: v_dual_mul_f32 v12, v1, v98
	;; [unrolled: 1-line block ×3, first 2 shown]
	s_delay_alu instid0(VALU_DEP_3) | instskip(NEXT) | instid1(VALU_DEP_3)
	v_fma_f32 v8, v4, v104, -v8
	v_fma_f32 v9, v2, v96, -v9
	s_delay_alu instid0(VALU_DEP_4) | instskip(NEXT) | instid1(VALU_DEP_4)
	v_dual_fmac_f32 v11, v6, v99 :: v_dual_fmac_f32 v12, v0, v97
	v_fma_f32 v10, v6, v100, -v10
	s_delay_alu instid0(VALU_DEP_3) | instskip(SKIP_2) | instid1(VALU_DEP_3)
	v_dual_mul_f32 v13, v5, v104 :: v_dual_add_f32 v6, v8, v9
	v_mul_f32_e32 v14, v3, v96
	v_fma_f32 v15, v0, v98, -v1
	v_dual_sub_f32 v0, v11, v12 :: v_dual_fmac_f32 v13, v4, v103
	s_delay_alu instid0(VALU_DEP_4) | instskip(SKIP_1) | instid1(VALU_DEP_4)
	v_fma_f32 v1, -0.5, v6, v102
	v_add_f32_e32 v17, v11, v12
	v_add_f32_e32 v5, v10, v15
	v_fmac_f32_e32 v14, v2, v95
	s_delay_alu instid0(VALU_DEP_4) | instskip(SKIP_1) | instid1(VALU_DEP_4)
	v_dual_sub_f32 v4, v15, v9 :: v_dual_fmamk_f32 v3, v0, 0x3f737871, v1
	v_fmac_f32_e32 v1, 0xbf737871, v0
	v_fma_f32 v5, -0.5, v5, v102
	s_delay_alu instid0(VALU_DEP_4) | instskip(NEXT) | instid1(VALU_DEP_1)
	v_sub_f32_e32 v6, v13, v14
	v_dual_sub_f32 v16, v9, v15 :: v_dual_fmamk_f32 v7, v6, 0xbf737871, v5
	s_delay_alu instid0(VALU_DEP_1) | instskip(SKIP_2) | instid1(VALU_DEP_2)
	v_fmac_f32_e32 v7, 0xbf167918, v0
	v_dual_sub_f32 v2, v10, v8 :: v_dual_fmac_f32 v3, 0xbf167918, v6
	v_fmac_f32_e32 v5, 0x3f737871, v6
	v_dual_fmac_f32 v1, 0x3f167918, v6 :: v_dual_add_f32 v2, v2, v4
	s_delay_alu instid0(VALU_DEP_2) | instskip(NEXT) | instid1(VALU_DEP_1)
	v_dual_sub_f32 v4, v8, v10 :: v_dual_fmac_f32 v5, 0x3f167918, v0
	v_dual_fmac_f32 v3, 0x3e9e377a, v2 :: v_dual_add_f32 v4, v4, v16
	s_delay_alu instid0(VALU_DEP_3) | instskip(NEXT) | instid1(VALU_DEP_2)
	v_dual_add_f32 v16, v102, v8 :: v_dual_fmac_f32 v1, 0x3e9e377a, v2
	v_dual_add_f32 v6, v13, v14 :: v_dual_fmac_f32 v7, 0x3e9e377a, v4
	s_delay_alu instid0(VALU_DEP_2) | instskip(SKIP_1) | instid1(VALU_DEP_3)
	v_add_f32_e32 v2, v16, v10
	v_sub_f32_e32 v10, v10, v15
	v_fma_f32 v0, -0.5, v6, v101
	v_dual_sub_f32 v16, v12, v14 :: v_dual_fmac_f32 v5, 0x3e9e377a, v4
	s_delay_alu instid0(VALU_DEP_4)
	v_dual_add_f32 v6, v2, v15 :: v_dual_sub_f32 v15, v11, v13
	v_sub_f32_e32 v8, v8, v9
	v_fma_f32 v4, -0.5, v17, v101
	v_fmamk_f32 v2, v10, 0xbf737871, v0
	v_dual_fmac_f32 v0, 0x3f737871, v10 :: v_dual_sub_f32 v17, v14, v12
	v_dual_add_f32 v15, v15, v16 :: v_dual_add_f32 v16, v101, v13
	v_sub_f32_e32 v13, v13, v11
	s_delay_alu instid0(VALU_DEP_4) | instskip(SKIP_1) | instid1(VALU_DEP_4)
	v_dual_add_f32 v9, v6, v9 :: v_dual_fmac_f32 v2, 0x3f167918, v8
	v_fmamk_f32 v6, v8, 0x3f737871, v4
	v_dual_fmac_f32 v4, 0xbf737871, v8 :: v_dual_add_f32 v11, v16, v11
	s_delay_alu instid0(VALU_DEP_4) | instskip(NEXT) | instid1(VALU_DEP_3)
	v_dual_fmac_f32 v0, 0xbf167918, v8 :: v_dual_add_f32 v13, v13, v17
	v_fmac_f32_e32 v6, 0x3f167918, v10
	s_delay_alu instid0(VALU_DEP_3) | instskip(NEXT) | instid1(VALU_DEP_4)
	v_fmac_f32_e32 v4, 0xbf167918, v10
	v_add_f32_e32 v8, v11, v12
	v_lshl_add_u32 v11, v117, 3, v111
	v_fmac_f32_e32 v2, 0x3e9e377a, v15
	v_fmac_f32_e32 v0, 0x3e9e377a, v15
	v_fmac_f32_e32 v4, 0x3e9e377a, v13
	v_add_f32_e32 v8, v8, v14
	v_add_nc_u32_e32 v10, 0x2400, v11
	v_add_nc_u32_e32 v12, 0x2800, v11
	v_fmac_f32_e32 v6, 0x3e9e377a, v13
	ds_store_2addr_b64 v10, v[8:9], v[4:5] offset0:123 offset1:140
	ds_store_2addr_b64 v12, v[0:1], v[2:3] offset0:29 offset1:46
	ds_store_b64 v11, v[6:7] offset:10744
.LBB0_21:
	s_wait_alu 0xfffe
	s_or_b32 exec_lo, exec_lo, s1
	global_wb scope:SCOPE_SE
	s_wait_dscnt 0x0
	s_barrier_signal -1
	s_barrier_wait -1
	global_inv scope:SCOPE_SE
	ds_load_2addr_b64 v[0:3], v112 offset1:85
	v_add_nc_u32_e32 v4, 0x400, v112
	s_wait_dscnt 0x0
	v_mul_f32_e32 v60, v57, v3
	v_mul_f32_e32 v57, v57, v2
	ds_load_b64 v[28:29], v112 offset:1360
	ds_load_2addr_b64 v[4:7], v4 offset0:127 offset1:212
	v_add_nc_u32_e32 v8, 0x800, v112
	v_add_nc_u32_e32 v12, 0x1000, v112
	s_wait_dscnt 0x1
	v_dual_mul_f32 v61, v59, v29 :: v_dual_add_nc_u32 v16, 0x1400, v112
	v_dual_mul_f32 v59, v59, v28 :: v_dual_fmac_f32 v60, v56, v2
	v_fma_f32 v2, v56, v3, -v57
	s_wait_dscnt 0x0
	v_mul_f32_e32 v3, v49, v5
	v_fmac_f32_e32 v61, v58, v28
	v_dual_mul_f32 v28, v49, v4 :: v_dual_mul_f32 v49, v51, v7
	v_add_nc_u32_e32 v20, 0x1800, v112
	s_delay_alu instid0(VALU_DEP_4) | instskip(NEXT) | instid1(VALU_DEP_3)
	v_dual_fmac_f32 v3, v48, v4 :: v_dual_mul_f32 v4, v51, v6
	v_fma_f32 v5, v48, v5, -v28
	s_delay_alu instid0(VALU_DEP_4)
	v_fmac_f32_e32 v49, v50, v6
	ds_load_2addr_b64 v[8:11], v8 offset0:169 offset1:254
	ds_load_b64 v[30:31], v112 offset:10200
	ds_load_2addr_b64 v[12:15], v12 offset0:83 offset1:168
	ds_load_2addr_b64 v[16:19], v16 offset0:125 offset1:210
	ds_load_2addr_b64 v[20:23], v20 offset0:167 offset1:252
	v_add_nc_u32_e32 v24, 0x2000, v112
	v_fma_f32 v4, v50, v7, -v4
	v_fma_f32 v29, v58, v29, -v59
	s_wait_dscnt 0x4
	v_mul_f32_e32 v28, v41, v9
	v_dual_mul_f32 v41, v41, v8 :: v_dual_mul_f32 v6, v43, v11
	s_delay_alu instid0(VALU_DEP_1)
	v_fma_f32 v7, v40, v9, -v41
	s_wait_dscnt 0x2
	v_mul_f32_e32 v9, v33, v13
	ds_load_2addr_b64 v[24:27], v24 offset0:81 offset1:166
	v_dual_fmac_f32 v6, v42, v10 :: v_dual_fmac_f32 v9, v32, v12
	v_fmac_f32_e32 v28, v40, v8
	v_mul_f32_e32 v8, v43, v10
	v_dual_mul_f32 v10, v33, v12 :: v_dual_mul_f32 v33, v35, v15
	s_wait_dscnt 0x2
	s_delay_alu instid0(VALU_DEP_1) | instskip(NEXT) | instid1(VALU_DEP_2)
	v_dual_mul_f32 v12, v53, v17 :: v_dual_fmac_f32 v33, v34, v14
	v_fma_f32 v10, v32, v13, -v10
	v_mul_f32_e32 v13, v53, v16
	v_fma_f32 v8, v42, v11, -v8
	v_mul_f32_e32 v11, v35, v14
	v_mul_f32_e32 v14, v55, v19
	s_delay_alu instid0(VALU_DEP_4)
	v_fma_f32 v13, v52, v17, -v13
	s_wait_dscnt 0x1
	v_mul_f32_e32 v17, v45, v20
	v_fma_f32 v11, v34, v15, -v11
	v_dual_mul_f32 v15, v55, v18 :: v_dual_fmac_f32 v12, v52, v16
	v_mul_f32_e32 v16, v45, v21
	s_delay_alu instid0(VALU_DEP_4)
	v_fma_f32 v17, v44, v21, -v17
	s_wait_dscnt 0x0
	v_mul_f32_e32 v21, v37, v24
	v_fma_f32 v15, v54, v19, -v15
	v_mul_f32_e32 v19, v47, v22
	v_dual_fmac_f32 v14, v54, v18 :: v_dual_sub_f32 v11, v1, v11
	v_mul_f32_e32 v18, v47, v23
	v_fma_f32 v21, v36, v25, -v21
	s_delay_alu instid0(VALU_DEP_4) | instskip(SKIP_2) | instid1(VALU_DEP_3)
	v_fma_f32 v19, v46, v23, -v19
	v_dual_mul_f32 v23, v39, v26 :: v_dual_fmac_f32 v16, v44, v20
	v_sub_f32_e32 v15, v29, v15
	v_dual_mul_f32 v20, v37, v25 :: v_dual_sub_f32 v19, v4, v19
	v_mul_f32_e32 v25, v94, v30
	s_delay_alu instid0(VALU_DEP_4) | instskip(SKIP_1) | instid1(VALU_DEP_4)
	v_fma_f32 v23, v38, v27, -v23
	v_fmac_f32_e32 v18, v46, v22
	v_dual_fmac_f32 v20, v36, v24 :: v_dual_sub_f32 v13, v2, v13
	v_dual_mul_f32 v24, v94, v31 :: v_dual_sub_f32 v21, v7, v21
	v_dual_mul_f32 v22, v39, v27 :: v_dual_sub_f32 v17, v5, v17
	s_delay_alu instid0(VALU_DEP_4) | instskip(NEXT) | instid1(VALU_DEP_4)
	v_dual_sub_f32 v23, v8, v23 :: v_dual_sub_f32 v18, v49, v18
	v_fma_f32 v2, v2, 2.0, -v13
	s_delay_alu instid0(VALU_DEP_4)
	v_fma_f32 v7, v7, 2.0, -v21
	v_sub_f32_e32 v14, v61, v14
	v_fma_f32 v25, v93, v31, -v25
	v_fmac_f32_e32 v24, v93, v30
	v_fma_f32 v27, v49, 2.0, -v18
	v_fmac_f32_e32 v22, v38, v26
	v_fma_f32 v8, v8, 2.0, -v23
	v_dual_sub_f32 v7, v2, v7 :: v_dual_sub_f32 v26, v0, v33
	v_add_f32_e32 v23, v14, v23
	v_fma_f32 v30, v61, 2.0, -v14
	v_sub_f32_e32 v25, v10, v25
	v_fma_f32 v5, v5, 2.0, -v17
	v_fma_f32 v0, v0, 2.0, -v26
	v_fma_f32 v14, v14, 2.0, -v23
	v_sub_f32_e32 v16, v3, v16
	v_sub_f32_e32 v24, v9, v24
	v_fma_f32 v10, v10, 2.0, -v25
	v_sub_f32_e32 v27, v0, v27
	v_fma_f32 v4, v4, 2.0, -v19
	v_fma_f32 v3, v3, 2.0, -v16
	;; [unrolled: 1-line block ×3, first 2 shown]
	v_sub_f32_e32 v12, v60, v12
	v_sub_f32_e32 v10, v5, v10
	v_fma_f32 v29, v29, 2.0, -v15
	v_add_f32_e32 v19, v26, v19
	v_dual_sub_f32 v9, v3, v9 :: v_dual_sub_f32 v22, v6, v22
	v_dual_add_f32 v21, v12, v21 :: v_dual_sub_f32 v18, v11, v18
	v_fma_f32 v2, v2, 2.0, -v7
	v_fma_f32 v5, v5, 2.0, -v10
	s_delay_alu instid0(VALU_DEP_4) | instskip(SKIP_4) | instid1(VALU_DEP_4)
	v_fma_f32 v6, v6, 2.0, -v22
	v_sub_f32_e32 v22, v15, v22
	v_fma_f32 v1, v1, 2.0, -v11
	v_fma_f32 v31, v60, 2.0, -v12
	v_dual_sub_f32 v5, v2, v5 :: v_dual_sub_f32 v8, v29, v8
	v_fmamk_f32 v37, v22, 0x3f3504f3, v18
	v_fma_f32 v15, v15, 2.0, -v22
	v_fma_f32 v3, v3, 2.0, -v9
	;; [unrolled: 1-line block ×4, first 2 shown]
	v_fmac_f32_e32 v37, 0xbf3504f3, v23
	v_fma_f32 v11, v11, 2.0, -v18
	v_sub_f32_e32 v4, v1, v4
	v_dual_sub_f32 v6, v30, v6 :: v_dual_add_f32 v35, v27, v8
	v_fma_f32 v2, v2, 2.0, -v5
	s_delay_alu instid0(VALU_DEP_4) | instskip(NEXT) | instid1(VALU_DEP_4)
	v_fmamk_f32 v33, v15, 0xbf3504f3, v11
	v_fma_f32 v1, v1, 2.0, -v4
	v_sub_f32_e32 v20, v28, v20
	v_fma_f32 v0, v0, 2.0, -v27
	v_fma_f32 v12, v12, 2.0, -v21
	v_fmac_f32_e32 v33, 0xbf3504f3, v14
	v_sub_f32_e32 v29, v1, v29
	v_fma_f32 v28, v28, 2.0, -v20
	v_add_f32_e32 v25, v16, v25
	v_fma_f32 v30, v30, 2.0, -v6
	v_fma_f32 v38, v18, 2.0, -v37
	;; [unrolled: 1-line block ×3, first 2 shown]
	v_sub_f32_e32 v28, v31, v28
	v_fma_f32 v16, v16, 2.0, -v25
	v_fmamk_f32 v32, v14, 0xbf3504f3, v26
	s_delay_alu instid0(VALU_DEP_3) | instskip(SKIP_2) | instid1(VALU_DEP_4)
	v_fma_f32 v31, v31, 2.0, -v28
	v_sub_f32_e32 v20, v13, v20
	v_fmamk_f32 v34, v23, 0x3f3504f3, v19
	v_fmac_f32_e32 v32, 0x3f3504f3, v15
	s_delay_alu instid0(VALU_DEP_4) | instskip(NEXT) | instid1(VALU_DEP_4)
	v_sub_f32_e32 v23, v31, v3
	v_fma_f32 v13, v13, 2.0, -v20
	s_delay_alu instid0(VALU_DEP_4)
	v_fmac_f32_e32 v34, 0x3f3504f3, v22
	v_fma_f32 v22, v27, 2.0, -v35
	v_fma_f32 v14, v26, 2.0, -v32
	;; [unrolled: 1-line block ×3, first 2 shown]
	v_fmamk_f32 v31, v25, 0x3f3504f3, v21
	v_sub_f32_e32 v24, v17, v24
	v_fma_f32 v19, v19, 2.0, -v34
	s_delay_alu instid0(VALU_DEP_2) | instskip(SKIP_1) | instid1(VALU_DEP_2)
	v_fma_f32 v15, v17, 2.0, -v24
	v_fma_f32 v17, v11, 2.0, -v33
	v_fmamk_f32 v27, v15, 0xbf3504f3, v13
	v_add_f32_e32 v39, v28, v10
	v_dual_sub_f32 v30, v0, v30 :: v_dual_fmac_f32 v31, 0x3f3504f3, v24
	v_fmamk_f32 v41, v24, 0x3f3504f3, v20
	s_delay_alu instid0(VALU_DEP_4) | instskip(NEXT) | instid1(VALU_DEP_3)
	v_dual_fmac_f32 v27, 0xbf3504f3, v16 :: v_dual_sub_f32 v36, v4, v6
	v_fma_f32 v0, v0, 2.0, -v30
	v_add_f32_e32 v18, v30, v5
	s_delay_alu instid0(VALU_DEP_4) | instskip(NEXT) | instid1(VALU_DEP_4)
	v_fmac_f32_e32 v41, 0xbf3504f3, v25
	v_fma_f32 v10, v13, 2.0, -v27
	v_fma_f32 v13, v28, 2.0, -v39
	v_fmamk_f32 v26, v16, 0xbf3504f3, v12
	v_sub_f32_e32 v40, v7, v9
	v_fma_f32 v4, v4, 2.0, -v36
	v_fmamk_f32 v9, v10, 0xbf6c835e, v17
	v_fma_f32 v16, v21, 2.0, -v31
	v_fmac_f32_e32 v26, 0x3f3504f3, v15
	v_fma_f32 v15, v7, 2.0, -v40
	v_sub_f32_e32 v6, v0, v3
	v_fma_f32 v3, v20, 2.0, -v41
	v_dual_fmamk_f32 v24, v39, 0x3f3504f3, v35 :: v_dual_fmamk_f32 v25, v40, 0x3f3504f3, v36
	v_fma_f32 v12, v12, 2.0, -v26
	v_fmamk_f32 v11, v15, 0xbf3504f3, v4
	v_dual_sub_f32 v7, v1, v2 :: v_dual_fmamk_f32 v20, v26, 0x3ec3ef15, v32
	v_fmamk_f32 v21, v27, 0x3ec3ef15, v33
	s_delay_alu instid0(VALU_DEP_4)
	v_fmamk_f32 v8, v12, 0xbf6c835e, v14
	v_fmac_f32_e32 v9, 0xbec3ef15, v12
	v_fmamk_f32 v12, v16, 0xbec3ef15, v19
	v_fmac_f32_e32 v11, 0xbf3504f3, v13
	v_fmac_f32_e32 v25, 0xbf3504f3, v39
	;; [unrolled: 1-line block ×3, first 2 shown]
	v_fmamk_f32 v10, v13, 0xbf3504f3, v22
	v_fmamk_f32 v13, v3, 0xbec3ef15, v38
	v_fmac_f32_e32 v12, 0x3f6c835e, v3
	v_fma_f32 v0, v0, 2.0, -v6
	v_fma_f32 v1, v1, 2.0, -v7
	v_fmac_f32_e32 v10, 0x3f3504f3, v15
	v_fmac_f32_e32 v13, 0xbf6c835e, v16
	v_fma_f32 v16, v19, 2.0, -v12
	v_dual_sub_f32 v19, v29, v23 :: v_dual_fmamk_f32 v28, v31, 0x3f6c835e, v34
	v_fmac_f32_e32 v20, 0x3f6c835e, v27
	v_fmac_f32_e32 v21, 0xbf6c835e, v26
	;; [unrolled: 1-line block ×3, first 2 shown]
	s_delay_alu instid0(VALU_DEP_4)
	v_fma_f32 v23, v29, 2.0, -v19
	v_fmamk_f32 v29, v41, 0x3f6c835e, v37
	v_fma_f32 v2, v14, 2.0, -v8
	v_fma_f32 v3, v17, 2.0, -v9
	;; [unrolled: 1-line block ×4, first 2 shown]
	v_fmac_f32_e32 v28, 0x3ec3ef15, v41
	v_fmac_f32_e32 v29, 0xbec3ef15, v31
	v_fma_f32 v17, v38, 2.0, -v13
	v_fma_f32 v22, v30, 2.0, -v18
	v_add_nc_u32_e32 v5, 0x400, v113
	v_fma_f32 v26, v32, 2.0, -v20
	v_fma_f32 v27, v33, 2.0, -v21
	;; [unrolled: 1-line block ×4, first 2 shown]
	ds_store_b64 v113, v[0:1]
	ds_store_2addr_b64 v113, v[2:3], v[14:15] offset0:85 offset1:170
	ds_store_2addr_b64 v5, v[16:17], v[22:23] offset0:127 offset1:212
	v_add_nc_u32_e32 v4, 0x800, v113
	v_add_nc_u32_e32 v3, 0x1000, v113
	;; [unrolled: 1-line block ×5, first 2 shown]
	v_fma_f32 v32, v34, 2.0, -v28
	v_fma_f32 v33, v37, 2.0, -v29
	ds_store_2addr_b64 v4, v[26:27], v[30:31] offset0:169 offset1:254
	ds_store_2addr_b64 v3, v[32:33], v[6:7] offset0:83 offset1:168
	ds_store_2addr_b64 v2, v[8:9], v[10:11] offset0:125 offset1:210
	ds_store_2addr_b64 v1, v[12:13], v[18:19] offset0:167 offset1:252
	ds_store_2addr_b64 v0, v[20:21], v[24:25] offset0:81 offset1:166
	ds_store_b64 v113, v[28:29] offset:10200
	global_wb scope:SCOPE_SE
	s_wait_dscnt 0x0
	s_barrier_signal -1
	s_barrier_wait -1
	global_inv scope:SCOPE_SE
	s_and_b32 exec_lo, exec_lo, vcc_lo
	s_cbranch_execz .LBB0_23
; %bb.22:
	global_load_b64 v[6:7], v108, s[12:13]
	ds_load_b64 v[8:9], v113
	v_mad_co_u64_u32 v[12:13], null, s4, v110, 0
	s_mov_b32 s0, 0x18181818
	s_mov_b32 s1, 0x3f481818
	s_mul_u64 s[2:3], s[4:5], 0x280
	s_wait_loadcnt_dscnt 0x0
	v_mul_f32_e32 v10, v9, v7
	v_mul_f32_e32 v7, v8, v7
	s_delay_alu instid0(VALU_DEP_2) | instskip(NEXT) | instid1(VALU_DEP_2)
	v_fmac_f32_e32 v10, v8, v6
	v_fma_f32 v8, v6, v9, -v7
	s_delay_alu instid0(VALU_DEP_2) | instskip(NEXT) | instid1(VALU_DEP_2)
	v_cvt_f64_f32_e32 v[6:7], v10
	v_cvt_f64_f32_e32 v[8:9], v8
	v_mad_co_u64_u32 v[10:11], null, s6, v92, 0
	s_wait_alu 0xfffe
	s_delay_alu instid0(VALU_DEP_3) | instskip(NEXT) | instid1(VALU_DEP_3)
	v_mul_f64_e32 v[6:7], s[0:1], v[6:7]
	v_mul_f64_e32 v[8:9], s[0:1], v[8:9]
	s_delay_alu instid0(VALU_DEP_2) | instskip(NEXT) | instid1(VALU_DEP_2)
	v_cvt_f32_f64_e32 v6, v[6:7]
	v_cvt_f32_f64_e32 v7, v[8:9]
	v_dual_mov_b32 v9, v13 :: v_dual_mov_b32 v8, v11
	s_delay_alu instid0(VALU_DEP_1) | instskip(SKIP_1) | instid1(VALU_DEP_2)
	v_mad_co_u64_u32 v[13:14], null, s7, v92, v[8:9]
	v_mad_co_u64_u32 v[8:9], null, s5, v110, v[9:10]
	v_mov_b32_e32 v11, v13
	s_delay_alu instid0(VALU_DEP_2) | instskip(NEXT) | instid1(VALU_DEP_2)
	v_mov_b32_e32 v13, v8
	v_lshlrev_b64_e32 v[8:9], 3, v[10:11]
	s_delay_alu instid0(VALU_DEP_2) | instskip(NEXT) | instid1(VALU_DEP_2)
	v_lshlrev_b64_e32 v[10:11], 3, v[12:13]
	v_add_co_u32 v14, vcc_lo, s14, v8
	s_delay_alu instid0(VALU_DEP_3) | instskip(NEXT) | instid1(VALU_DEP_2)
	v_add_co_ci_u32_e32 v15, vcc_lo, s15, v9, vcc_lo
	v_add_co_u32 v10, vcc_lo, v14, v10
	s_wait_alu 0xfffd
	s_delay_alu instid0(VALU_DEP_2)
	v_add_co_ci_u32_e32 v11, vcc_lo, v15, v11, vcc_lo
	global_store_b64 v[10:11], v[6:7], off
	global_load_b64 v[12:13], v108, s[12:13] offset:640
	ds_load_2addr_b64 v[6:9], v113 offset0:80 offset1:160
	v_add_co_u32 v10, vcc_lo, v10, s2
	s_wait_alu 0xfffd
	v_add_co_ci_u32_e32 v11, vcc_lo, s3, v11, vcc_lo
	s_wait_loadcnt_dscnt 0x0
	v_mul_f32_e32 v16, v7, v13
	v_mul_f32_e32 v13, v6, v13
	s_delay_alu instid0(VALU_DEP_2) | instskip(NEXT) | instid1(VALU_DEP_2)
	v_fmac_f32_e32 v16, v6, v12
	v_fma_f32 v12, v12, v7, -v13
	s_delay_alu instid0(VALU_DEP_2) | instskip(NEXT) | instid1(VALU_DEP_2)
	v_cvt_f64_f32_e32 v[6:7], v16
	v_cvt_f64_f32_e32 v[12:13], v12
	s_delay_alu instid0(VALU_DEP_2) | instskip(NEXT) | instid1(VALU_DEP_2)
	v_mul_f64_e32 v[6:7], s[0:1], v[6:7]
	v_mul_f64_e32 v[12:13], s[0:1], v[12:13]
	s_delay_alu instid0(VALU_DEP_2) | instskip(NEXT) | instid1(VALU_DEP_2)
	v_cvt_f32_f64_e32 v6, v[6:7]
	v_cvt_f32_f64_e32 v7, v[12:13]
	global_store_b64 v[10:11], v[6:7], off
	global_load_b64 v[6:7], v108, s[12:13] offset:1280
	s_wait_loadcnt 0x0
	v_mul_f32_e32 v12, v9, v7
	v_mul_f32_e32 v7, v8, v7
	s_delay_alu instid0(VALU_DEP_2) | instskip(NEXT) | instid1(VALU_DEP_2)
	v_fmac_f32_e32 v12, v8, v6
	v_fma_f32 v8, v6, v9, -v7
	s_delay_alu instid0(VALU_DEP_2) | instskip(NEXT) | instid1(VALU_DEP_2)
	v_cvt_f64_f32_e32 v[6:7], v12
	v_cvt_f64_f32_e32 v[8:9], v8
	s_delay_alu instid0(VALU_DEP_2) | instskip(NEXT) | instid1(VALU_DEP_2)
	v_mul_f64_e32 v[6:7], s[0:1], v[6:7]
	v_mul_f64_e32 v[8:9], s[0:1], v[8:9]
	s_delay_alu instid0(VALU_DEP_2) | instskip(NEXT) | instid1(VALU_DEP_2)
	v_cvt_f32_f64_e32 v6, v[6:7]
	v_cvt_f32_f64_e32 v7, v[8:9]
	v_add_co_u32 v9, vcc_lo, v10, s2
	s_wait_alu 0xfffd
	v_add_co_ci_u32_e32 v10, vcc_lo, s3, v11, vcc_lo
	global_store_b64 v[9:10], v[6:7], off
	global_load_b64 v[11:12], v108, s[12:13] offset:1920
	ds_load_2addr_b64 v[5:8], v5 offset0:112 offset1:192
	v_add_co_u32 v9, vcc_lo, v9, s2
	s_wait_alu 0xfffd
	v_add_co_ci_u32_e32 v10, vcc_lo, s3, v10, vcc_lo
	s_wait_loadcnt_dscnt 0x0
	v_mul_f32_e32 v13, v6, v12
	v_mul_f32_e32 v12, v5, v12
	s_delay_alu instid0(VALU_DEP_2) | instskip(NEXT) | instid1(VALU_DEP_2)
	v_fmac_f32_e32 v13, v5, v11
	v_fma_f32 v11, v11, v6, -v12
	s_delay_alu instid0(VALU_DEP_2) | instskip(NEXT) | instid1(VALU_DEP_2)
	v_cvt_f64_f32_e32 v[5:6], v13
	v_cvt_f64_f32_e32 v[11:12], v11
	s_delay_alu instid0(VALU_DEP_2) | instskip(NEXT) | instid1(VALU_DEP_2)
	v_mul_f64_e32 v[5:6], s[0:1], v[5:6]
	v_mul_f64_e32 v[11:12], s[0:1], v[11:12]
	s_delay_alu instid0(VALU_DEP_2) | instskip(NEXT) | instid1(VALU_DEP_2)
	v_cvt_f32_f64_e32 v5, v[5:6]
	v_cvt_f32_f64_e32 v6, v[11:12]
	global_store_b64 v[9:10], v[5:6], off
	global_load_b64 v[5:6], v108, s[12:13] offset:2560
	s_wait_loadcnt 0x0
	v_mul_f32_e32 v11, v8, v6
	v_mul_f32_e32 v6, v7, v6
	s_delay_alu instid0(VALU_DEP_2) | instskip(NEXT) | instid1(VALU_DEP_2)
	v_fmac_f32_e32 v11, v7, v5
	v_fma_f32 v7, v5, v8, -v6
	s_delay_alu instid0(VALU_DEP_2) | instskip(NEXT) | instid1(VALU_DEP_2)
	v_cvt_f64_f32_e32 v[5:6], v11
	v_cvt_f64_f32_e32 v[7:8], v7
	s_delay_alu instid0(VALU_DEP_2) | instskip(NEXT) | instid1(VALU_DEP_2)
	v_mul_f64_e32 v[5:6], s[0:1], v[5:6]
	v_mul_f64_e32 v[7:8], s[0:1], v[7:8]
	s_delay_alu instid0(VALU_DEP_2) | instskip(NEXT) | instid1(VALU_DEP_2)
	v_cvt_f32_f64_e32 v5, v[5:6]
	v_cvt_f32_f64_e32 v6, v[7:8]
	v_add_co_u32 v8, vcc_lo, v9, s2
	s_wait_alu 0xfffd
	;; [unrolled: 41-line block ×3, first 2 shown]
	v_add_co_ci_u32_e32 v8, vcc_lo, s3, v9, vcc_lo
	global_store_b64 v[7:8], v[4:5], off
	global_load_b64 v[9:10], v108, s[12:13] offset:4480
	ds_load_2addr_b64 v[3:6], v3 offset0:48 offset1:128
	v_add_co_u32 v7, vcc_lo, v7, s2
	s_wait_alu 0xfffd
	v_add_co_ci_u32_e32 v8, vcc_lo, s3, v8, vcc_lo
	s_wait_loadcnt_dscnt 0x0
	v_mul_f32_e32 v11, v4, v10
	v_mul_f32_e32 v10, v3, v10
	s_delay_alu instid0(VALU_DEP_2) | instskip(NEXT) | instid1(VALU_DEP_2)
	v_fmac_f32_e32 v11, v3, v9
	v_fma_f32 v9, v9, v4, -v10
	s_delay_alu instid0(VALU_DEP_2) | instskip(NEXT) | instid1(VALU_DEP_2)
	v_cvt_f64_f32_e32 v[3:4], v11
	v_cvt_f64_f32_e32 v[9:10], v9
	s_delay_alu instid0(VALU_DEP_2) | instskip(NEXT) | instid1(VALU_DEP_2)
	v_mul_f64_e32 v[3:4], s[0:1], v[3:4]
	v_mul_f64_e32 v[9:10], s[0:1], v[9:10]
	s_delay_alu instid0(VALU_DEP_2) | instskip(NEXT) | instid1(VALU_DEP_2)
	v_cvt_f32_f64_e32 v3, v[3:4]
	v_cvt_f32_f64_e32 v4, v[9:10]
	global_store_b64 v[7:8], v[3:4], off
	global_load_b64 v[3:4], v108, s[12:13] offset:5120
	s_wait_loadcnt 0x0
	v_mul_f32_e32 v9, v6, v4
	v_mul_f32_e32 v4, v5, v4
	s_delay_alu instid0(VALU_DEP_2) | instskip(NEXT) | instid1(VALU_DEP_2)
	v_fmac_f32_e32 v9, v5, v3
	v_fma_f32 v5, v3, v6, -v4
	s_delay_alu instid0(VALU_DEP_2) | instskip(NEXT) | instid1(VALU_DEP_2)
	v_cvt_f64_f32_e32 v[3:4], v9
	v_cvt_f64_f32_e32 v[5:6], v5
	v_mad_co_u64_u32 v[9:10], null, s4, v109, 0
	s_delay_alu instid0(VALU_DEP_3) | instskip(NEXT) | instid1(VALU_DEP_3)
	v_mul_f64_e32 v[3:4], s[0:1], v[3:4]
	v_mul_f64_e32 v[5:6], s[0:1], v[5:6]
	s_delay_alu instid0(VALU_DEP_2) | instskip(NEXT) | instid1(VALU_DEP_2)
	v_cvt_f32_f64_e32 v3, v[3:4]
	v_cvt_f32_f64_e32 v4, v[5:6]
	v_mov_b32_e32 v5, v10
	s_delay_alu instid0(VALU_DEP_1) | instskip(NEXT) | instid1(VALU_DEP_1)
	v_mad_co_u64_u32 v[5:6], null, s5, v109, v[5:6]
	v_mov_b32_e32 v10, v5
	s_delay_alu instid0(VALU_DEP_1) | instskip(NEXT) | instid1(VALU_DEP_1)
	v_lshlrev_b64_e32 v[5:6], 3, v[9:10]
	v_add_co_u32 v5, vcc_lo, v14, v5
	s_wait_alu 0xfffd
	s_delay_alu instid0(VALU_DEP_2)
	v_add_co_ci_u32_e32 v6, vcc_lo, v15, v6, vcc_lo
	global_store_b64 v[5:6], v[3:4], off
	global_load_b64 v[9:10], v108, s[12:13] offset:5760
	ds_load_2addr_b64 v[2:5], v2 offset0:80 offset1:160
	s_wait_loadcnt_dscnt 0x0
	v_mul_f32_e32 v6, v3, v10
	v_mul_f32_e32 v10, v2, v10
	s_delay_alu instid0(VALU_DEP_2) | instskip(NEXT) | instid1(VALU_DEP_2)
	v_fmac_f32_e32 v6, v2, v9
	v_fma_f32 v9, v9, v3, -v10
	s_delay_alu instid0(VALU_DEP_2) | instskip(NEXT) | instid1(VALU_DEP_2)
	v_cvt_f64_f32_e32 v[2:3], v6
	v_cvt_f64_f32_e32 v[9:10], v9
	v_mad_co_u64_u32 v[6:7], null, 0x500, s4, v[7:8]
	s_delay_alu instid0(VALU_DEP_1) | instskip(NEXT) | instid1(VALU_DEP_4)
	v_mad_co_u64_u32 v[7:8], null, 0x500, s5, v[7:8]
	v_mul_f64_e32 v[2:3], s[0:1], v[2:3]
	s_delay_alu instid0(VALU_DEP_4) | instskip(NEXT) | instid1(VALU_DEP_2)
	v_mul_f64_e32 v[9:10], s[0:1], v[9:10]
	v_cvt_f32_f64_e32 v2, v[2:3]
	s_delay_alu instid0(VALU_DEP_2)
	v_cvt_f32_f64_e32 v3, v[9:10]
	global_store_b64 v[6:7], v[2:3], off
	global_load_b64 v[2:3], v108, s[12:13] offset:6400
	s_wait_loadcnt 0x0
	v_mul_f32_e32 v8, v5, v3
	v_mul_f32_e32 v3, v4, v3
	s_delay_alu instid0(VALU_DEP_2) | instskip(NEXT) | instid1(VALU_DEP_2)
	v_fmac_f32_e32 v8, v4, v2
	v_fma_f32 v4, v2, v5, -v3
	s_delay_alu instid0(VALU_DEP_2) | instskip(NEXT) | instid1(VALU_DEP_2)
	v_cvt_f64_f32_e32 v[2:3], v8
	v_cvt_f64_f32_e32 v[4:5], v4
	s_delay_alu instid0(VALU_DEP_2) | instskip(NEXT) | instid1(VALU_DEP_2)
	v_mul_f64_e32 v[2:3], s[0:1], v[2:3]
	v_mul_f64_e32 v[4:5], s[0:1], v[4:5]
	s_delay_alu instid0(VALU_DEP_2) | instskip(NEXT) | instid1(VALU_DEP_2)
	v_cvt_f32_f64_e32 v2, v[2:3]
	v_cvt_f32_f64_e32 v3, v[4:5]
	v_add_co_u32 v5, vcc_lo, v6, s2
	s_wait_alu 0xfffd
	v_add_co_ci_u32_e32 v6, vcc_lo, s3, v7, vcc_lo
	global_store_b64 v[5:6], v[2:3], off
	global_load_b64 v[7:8], v108, s[12:13] offset:7040
	ds_load_2addr_b64 v[1:4], v1 offset0:112 offset1:192
	v_add_co_u32 v5, vcc_lo, v5, s2
	s_wait_alu 0xfffd
	v_add_co_ci_u32_e32 v6, vcc_lo, s3, v6, vcc_lo
	s_wait_loadcnt_dscnt 0x0
	v_mul_f32_e32 v9, v2, v8
	v_mul_f32_e32 v8, v1, v8
	s_delay_alu instid0(VALU_DEP_2) | instskip(NEXT) | instid1(VALU_DEP_2)
	v_fmac_f32_e32 v9, v1, v7
	v_fma_f32 v7, v7, v2, -v8
	s_delay_alu instid0(VALU_DEP_2) | instskip(NEXT) | instid1(VALU_DEP_2)
	v_cvt_f64_f32_e32 v[1:2], v9
	v_cvt_f64_f32_e32 v[7:8], v7
	s_delay_alu instid0(VALU_DEP_2) | instskip(NEXT) | instid1(VALU_DEP_2)
	v_mul_f64_e32 v[1:2], s[0:1], v[1:2]
	v_mul_f64_e32 v[7:8], s[0:1], v[7:8]
	s_delay_alu instid0(VALU_DEP_2) | instskip(NEXT) | instid1(VALU_DEP_2)
	v_cvt_f32_f64_e32 v1, v[1:2]
	v_cvt_f32_f64_e32 v2, v[7:8]
	global_store_b64 v[5:6], v[1:2], off
	global_load_b64 v[1:2], v108, s[12:13] offset:7680
	s_wait_loadcnt 0x0
	v_mul_f32_e32 v7, v4, v2
	v_mul_f32_e32 v2, v3, v2
	s_delay_alu instid0(VALU_DEP_2) | instskip(NEXT) | instid1(VALU_DEP_2)
	v_fmac_f32_e32 v7, v3, v1
	v_fma_f32 v3, v1, v4, -v2
	s_delay_alu instid0(VALU_DEP_2) | instskip(NEXT) | instid1(VALU_DEP_2)
	v_cvt_f64_f32_e32 v[1:2], v7
	v_cvt_f64_f32_e32 v[3:4], v3
	s_delay_alu instid0(VALU_DEP_2) | instskip(NEXT) | instid1(VALU_DEP_2)
	v_mul_f64_e32 v[1:2], s[0:1], v[1:2]
	v_mul_f64_e32 v[3:4], s[0:1], v[3:4]
	s_delay_alu instid0(VALU_DEP_2) | instskip(NEXT) | instid1(VALU_DEP_2)
	v_cvt_f32_f64_e32 v1, v[1:2]
	v_cvt_f32_f64_e32 v2, v[3:4]
	v_add_co_u32 v4, vcc_lo, v5, s2
	s_wait_alu 0xfffd
	v_add_co_ci_u32_e32 v5, vcc_lo, s3, v6, vcc_lo
	global_store_b64 v[4:5], v[1:2], off
	global_load_b64 v[6:7], v108, s[12:13] offset:8320
	ds_load_2addr_b64 v[0:3], v0 offset0:16 offset1:96
	v_add_co_u32 v4, vcc_lo, v4, s2
	s_wait_alu 0xfffd
	v_add_co_ci_u32_e32 v5, vcc_lo, s3, v5, vcc_lo
	s_wait_loadcnt_dscnt 0x0
	v_mul_f32_e32 v8, v1, v7
	v_mul_f32_e32 v7, v0, v7
	s_delay_alu instid0(VALU_DEP_2) | instskip(NEXT) | instid1(VALU_DEP_2)
	v_fmac_f32_e32 v8, v0, v6
	v_fma_f32 v6, v6, v1, -v7
	s_delay_alu instid0(VALU_DEP_2) | instskip(NEXT) | instid1(VALU_DEP_2)
	v_cvt_f64_f32_e32 v[0:1], v8
	v_cvt_f64_f32_e32 v[6:7], v6
	s_delay_alu instid0(VALU_DEP_2) | instskip(NEXT) | instid1(VALU_DEP_2)
	v_mul_f64_e32 v[0:1], s[0:1], v[0:1]
	v_mul_f64_e32 v[6:7], s[0:1], v[6:7]
	s_delay_alu instid0(VALU_DEP_2) | instskip(NEXT) | instid1(VALU_DEP_2)
	v_cvt_f32_f64_e32 v0, v[0:1]
	v_cvt_f32_f64_e32 v1, v[6:7]
	global_store_b64 v[4:5], v[0:1], off
	global_load_b64 v[0:1], v108, s[12:13] offset:8960
	v_add_co_u32 v4, vcc_lo, v4, s2
	s_wait_alu 0xfffd
	v_add_co_ci_u32_e32 v5, vcc_lo, s3, v5, vcc_lo
	s_wait_loadcnt 0x0
	v_mul_f32_e32 v6, v3, v1
	v_mul_f32_e32 v1, v2, v1
	s_delay_alu instid0(VALU_DEP_2) | instskip(NEXT) | instid1(VALU_DEP_2)
	v_fmac_f32_e32 v6, v2, v0
	v_fma_f32 v2, v0, v3, -v1
	s_delay_alu instid0(VALU_DEP_2) | instskip(NEXT) | instid1(VALU_DEP_2)
	v_cvt_f64_f32_e32 v[0:1], v6
	v_cvt_f64_f32_e32 v[2:3], v2
	s_delay_alu instid0(VALU_DEP_2) | instskip(NEXT) | instid1(VALU_DEP_2)
	v_mul_f64_e32 v[0:1], s[0:1], v[0:1]
	v_mul_f64_e32 v[2:3], s[0:1], v[2:3]
	s_delay_alu instid0(VALU_DEP_2) | instskip(NEXT) | instid1(VALU_DEP_2)
	v_cvt_f32_f64_e32 v0, v[0:1]
	v_cvt_f32_f64_e32 v1, v[2:3]
	global_store_b64 v[4:5], v[0:1], off
	global_load_b64 v[6:7], v108, s[12:13] offset:9600
	v_add_nc_u32_e32 v0, 0x2400, v113
	v_add_co_u32 v4, vcc_lo, v4, s2
	s_wait_alu 0xfffd
	v_add_co_ci_u32_e32 v5, vcc_lo, s3, v5, vcc_lo
	ds_load_2addr_b64 v[0:3], v0 offset0:48 offset1:128
	s_wait_loadcnt_dscnt 0x0
	v_mul_f32_e32 v8, v1, v7
	v_mul_f32_e32 v7, v0, v7
	s_delay_alu instid0(VALU_DEP_2) | instskip(NEXT) | instid1(VALU_DEP_2)
	v_fmac_f32_e32 v8, v0, v6
	v_fma_f32 v6, v6, v1, -v7
	s_delay_alu instid0(VALU_DEP_2) | instskip(NEXT) | instid1(VALU_DEP_2)
	v_cvt_f64_f32_e32 v[0:1], v8
	v_cvt_f64_f32_e32 v[6:7], v6
	s_delay_alu instid0(VALU_DEP_2) | instskip(NEXT) | instid1(VALU_DEP_2)
	v_mul_f64_e32 v[0:1], s[0:1], v[0:1]
	v_mul_f64_e32 v[6:7], s[0:1], v[6:7]
	s_delay_alu instid0(VALU_DEP_2) | instskip(NEXT) | instid1(VALU_DEP_2)
	v_cvt_f32_f64_e32 v0, v[0:1]
	v_cvt_f32_f64_e32 v1, v[6:7]
	global_store_b64 v[4:5], v[0:1], off
	global_load_b64 v[0:1], v108, s[12:13] offset:10240
	s_wait_loadcnt 0x0
	v_mul_f32_e32 v4, v3, v1
	v_mul_f32_e32 v1, v2, v1
	s_delay_alu instid0(VALU_DEP_2) | instskip(NEXT) | instid1(VALU_DEP_2)
	v_fmac_f32_e32 v4, v2, v0
	v_fma_f32 v2, v0, v3, -v1
	s_delay_alu instid0(VALU_DEP_2) | instskip(NEXT) | instid1(VALU_DEP_2)
	v_cvt_f64_f32_e32 v[0:1], v4
	v_cvt_f64_f32_e32 v[2:3], v2
	v_mad_co_u64_u32 v[4:5], null, s4, v107, 0
	s_delay_alu instid0(VALU_DEP_3) | instskip(NEXT) | instid1(VALU_DEP_3)
	v_mul_f64_e32 v[0:1], s[0:1], v[0:1]
	v_mul_f64_e32 v[2:3], s[0:1], v[2:3]
	s_delay_alu instid0(VALU_DEP_2) | instskip(NEXT) | instid1(VALU_DEP_2)
	v_cvt_f32_f64_e32 v0, v[0:1]
	v_cvt_f32_f64_e32 v1, v[2:3]
	v_mov_b32_e32 v2, v5
	s_delay_alu instid0(VALU_DEP_1) | instskip(NEXT) | instid1(VALU_DEP_1)
	v_mad_co_u64_u32 v[2:3], null, s5, v107, v[2:3]
	v_mov_b32_e32 v5, v2
	s_delay_alu instid0(VALU_DEP_1) | instskip(NEXT) | instid1(VALU_DEP_1)
	v_lshlrev_b64_e32 v[2:3], 3, v[4:5]
	v_add_co_u32 v2, vcc_lo, v14, v2
	s_wait_alu 0xfffd
	s_delay_alu instid0(VALU_DEP_2)
	v_add_co_ci_u32_e32 v3, vcc_lo, v15, v3, vcc_lo
	global_store_b64 v[2:3], v[0:1], off
.LBB0_23:
	s_nop 0
	s_sendmsg sendmsg(MSG_DEALLOC_VGPRS)
	s_endpgm
	.section	.rodata,"a",@progbits
	.p2align	6, 0x0
	.amdhsa_kernel bluestein_single_fwd_len1360_dim1_sp_op_CI_CI
		.amdhsa_group_segment_fixed_size 32640
		.amdhsa_private_segment_fixed_size 0
		.amdhsa_kernarg_size 104
		.amdhsa_user_sgpr_count 2
		.amdhsa_user_sgpr_dispatch_ptr 0
		.amdhsa_user_sgpr_queue_ptr 0
		.amdhsa_user_sgpr_kernarg_segment_ptr 1
		.amdhsa_user_sgpr_dispatch_id 0
		.amdhsa_user_sgpr_private_segment_size 0
		.amdhsa_wavefront_size32 1
		.amdhsa_uses_dynamic_stack 0
		.amdhsa_enable_private_segment 0
		.amdhsa_system_sgpr_workgroup_id_x 1
		.amdhsa_system_sgpr_workgroup_id_y 0
		.amdhsa_system_sgpr_workgroup_id_z 0
		.amdhsa_system_sgpr_workgroup_info 0
		.amdhsa_system_vgpr_workitem_id 0
		.amdhsa_next_free_vgpr 253
		.amdhsa_next_free_sgpr 16
		.amdhsa_reserve_vcc 1
		.amdhsa_float_round_mode_32 0
		.amdhsa_float_round_mode_16_64 0
		.amdhsa_float_denorm_mode_32 3
		.amdhsa_float_denorm_mode_16_64 3
		.amdhsa_fp16_overflow 0
		.amdhsa_workgroup_processor_mode 1
		.amdhsa_memory_ordered 1
		.amdhsa_forward_progress 0
		.amdhsa_round_robin_scheduling 0
		.amdhsa_exception_fp_ieee_invalid_op 0
		.amdhsa_exception_fp_denorm_src 0
		.amdhsa_exception_fp_ieee_div_zero 0
		.amdhsa_exception_fp_ieee_overflow 0
		.amdhsa_exception_fp_ieee_underflow 0
		.amdhsa_exception_fp_ieee_inexact 0
		.amdhsa_exception_int_div_zero 0
	.end_amdhsa_kernel
	.text
.Lfunc_end0:
	.size	bluestein_single_fwd_len1360_dim1_sp_op_CI_CI, .Lfunc_end0-bluestein_single_fwd_len1360_dim1_sp_op_CI_CI
                                        ; -- End function
	.section	.AMDGPU.csdata,"",@progbits
; Kernel info:
; codeLenInByte = 24152
; NumSgprs: 18
; NumVgprs: 253
; ScratchSize: 0
; MemoryBound: 0
; FloatMode: 240
; IeeeMode: 1
; LDSByteSize: 32640 bytes/workgroup (compile time only)
; SGPRBlocks: 2
; VGPRBlocks: 31
; NumSGPRsForWavesPerEU: 18
; NumVGPRsForWavesPerEU: 253
; Occupancy: 5
; WaveLimiterHint : 1
; COMPUTE_PGM_RSRC2:SCRATCH_EN: 0
; COMPUTE_PGM_RSRC2:USER_SGPR: 2
; COMPUTE_PGM_RSRC2:TRAP_HANDLER: 0
; COMPUTE_PGM_RSRC2:TGID_X_EN: 1
; COMPUTE_PGM_RSRC2:TGID_Y_EN: 0
; COMPUTE_PGM_RSRC2:TGID_Z_EN: 0
; COMPUTE_PGM_RSRC2:TIDIG_COMP_CNT: 0
	.text
	.p2alignl 7, 3214868480
	.fill 96, 4, 3214868480
	.type	__hip_cuid_41592fc523e6c122,@object ; @__hip_cuid_41592fc523e6c122
	.section	.bss,"aw",@nobits
	.globl	__hip_cuid_41592fc523e6c122
__hip_cuid_41592fc523e6c122:
	.byte	0                               ; 0x0
	.size	__hip_cuid_41592fc523e6c122, 1

	.ident	"AMD clang version 19.0.0git (https://github.com/RadeonOpenCompute/llvm-project roc-6.4.0 25133 c7fe45cf4b819c5991fe208aaa96edf142730f1d)"
	.section	".note.GNU-stack","",@progbits
	.addrsig
	.addrsig_sym __hip_cuid_41592fc523e6c122
	.amdgpu_metadata
---
amdhsa.kernels:
  - .args:
      - .actual_access:  read_only
        .address_space:  global
        .offset:         0
        .size:           8
        .value_kind:     global_buffer
      - .actual_access:  read_only
        .address_space:  global
        .offset:         8
        .size:           8
        .value_kind:     global_buffer
      - .actual_access:  read_only
        .address_space:  global
        .offset:         16
        .size:           8
        .value_kind:     global_buffer
      - .actual_access:  read_only
        .address_space:  global
        .offset:         24
        .size:           8
        .value_kind:     global_buffer
      - .actual_access:  read_only
        .address_space:  global
        .offset:         32
        .size:           8
        .value_kind:     global_buffer
      - .offset:         40
        .size:           8
        .value_kind:     by_value
      - .address_space:  global
        .offset:         48
        .size:           8
        .value_kind:     global_buffer
      - .address_space:  global
        .offset:         56
        .size:           8
        .value_kind:     global_buffer
      - .address_space:  global
        .offset:         64
        .size:           8
        .value_kind:     global_buffer
      - .address_space:  global
        .offset:         72
        .size:           8
        .value_kind:     global_buffer
      - .offset:         80
        .size:           4
        .value_kind:     by_value
      - .address_space:  global
        .offset:         88
        .size:           8
        .value_kind:     global_buffer
      - .address_space:  global
        .offset:         96
        .size:           8
        .value_kind:     global_buffer
    .group_segment_fixed_size: 32640
    .kernarg_segment_align: 8
    .kernarg_segment_size: 104
    .language:       OpenCL C
    .language_version:
      - 2
      - 0
    .max_flat_workgroup_size: 255
    .name:           bluestein_single_fwd_len1360_dim1_sp_op_CI_CI
    .private_segment_fixed_size: 0
    .sgpr_count:     18
    .sgpr_spill_count: 0
    .symbol:         bluestein_single_fwd_len1360_dim1_sp_op_CI_CI.kd
    .uniform_work_group_size: 1
    .uses_dynamic_stack: false
    .vgpr_count:     253
    .vgpr_spill_count: 0
    .wavefront_size: 32
    .workgroup_processor_mode: 1
amdhsa.target:   amdgcn-amd-amdhsa--gfx1201
amdhsa.version:
  - 1
  - 2
...

	.end_amdgpu_metadata
